;; amdgpu-corpus repo=ROCm/rocFFT kind=compiled arch=gfx950 opt=O3
	.text
	.amdgcn_target "amdgcn-amd-amdhsa--gfx950"
	.amdhsa_code_object_version 6
	.protected	bluestein_single_fwd_len1430_dim1_sp_op_CI_CI ; -- Begin function bluestein_single_fwd_len1430_dim1_sp_op_CI_CI
	.globl	bluestein_single_fwd_len1430_dim1_sp_op_CI_CI
	.p2align	8
	.type	bluestein_single_fwd_len1430_dim1_sp_op_CI_CI,@function
bluestein_single_fwd_len1430_dim1_sp_op_CI_CI: ; @bluestein_single_fwd_len1430_dim1_sp_op_CI_CI
; %bb.0:
	s_load_dwordx4 s[4:7], s[0:1], 0x28
	v_mul_u32_u24_e32 v1, 0x1cb, v0
	v_add_u32_sdwa v66, s2, v1 dst_sel:DWORD dst_unused:UNUSED_PAD src0_sel:DWORD src1_sel:WORD_1
	v_mov_b32_e32 v67, 0
	s_waitcnt lgkmcnt(0)
	v_cmp_gt_u64_e32 vcc, s[4:5], v[66:67]
	s_and_saveexec_b64 s[2:3], vcc
	s_cbranch_execz .LBB0_23
; %bb.1:
	s_load_dwordx2 s[12:13], s[0:1], 0x0
	s_load_dwordx2 s[14:15], s[0:1], 0x38
	s_movk_i32 s2, 0x8f
	v_mul_lo_u16_sdwa v1, v1, s2 dst_sel:DWORD dst_unused:UNUSED_PAD src0_sel:WORD_1 src1_sel:DWORD
	v_sub_u16_e32 v67, v0, v1
	s_movk_i32 s2, 0x6e
	v_cmp_gt_u16_e64 s[4:5], s2, v67
	v_lshlrev_b32_e32 v64, 3, v67
	s_and_saveexec_b64 s[2:3], s[4:5]
	s_cbranch_execz .LBB0_3
; %bb.2:
	s_load_dwordx2 s[8:9], s[0:1], 0x18
	v_mov_b32_e32 v0, s6
	v_mov_b32_e32 v1, s7
	;; [unrolled: 1-line block ×4, first 2 shown]
	s_waitcnt lgkmcnt(0)
	s_load_dwordx4 s[8:11], s[8:9], 0x0
	s_waitcnt lgkmcnt(0)
	v_mad_u64_u32 v[2:3], s[6:7], s10, v66, 0
	v_mad_u64_u32 v[4:5], s[6:7], s8, v67, 0
	v_mov_b32_e32 v6, v3
	v_mov_b32_e32 v8, v5
	v_mad_u64_u32 v[6:7], s[6:7], s11, v66, v[6:7]
	v_mov_b32_e32 v3, v6
	v_mad_u64_u32 v[6:7], s[6:7], s9, v67, v[8:9]
	v_mov_b32_e32 v5, v6
	v_lshl_add_u64 v[0:1], v[2:3], 3, v[0:1]
	v_lshl_add_u64 v[0:1], v[4:5], 3, v[0:1]
	global_load_dwordx2 v[2:3], v[0:1], off
	v_mad_u64_u32 v[0:1], s[6:7], s8, v52, v[0:1]
	s_mulk_i32 s9, 0x370
	v_add_u32_e32 v1, s9, v1
	v_mad_u64_u32 v[6:7], s[6:7], s8, v52, v[0:1]
	v_add_u32_e32 v7, s9, v7
	v_mad_u64_u32 v[8:9], s[6:7], s8, v52, v[6:7]
	v_add_u32_e32 v9, s9, v9
	v_mad_u64_u32 v[18:19], s[6:7], s8, v52, v[8:9]
	v_add_u32_e32 v19, s9, v19
	global_load_dwordx2 v[10:11], v64, s[12:13]
	global_load_dwordx2 v[12:13], v64, s[12:13] offset:880
	global_load_dwordx2 v[14:15], v64, s[12:13] offset:1760
	;; [unrolled: 1-line block ×3, first 2 shown]
	global_load_dwordx2 v[20:21], v[0:1], off
	global_load_dwordx2 v[22:23], v[6:7], off
	;; [unrolled: 1-line block ×4, first 2 shown]
	global_load_dwordx2 v[28:29], v64, s[12:13] offset:3520
	v_mad_u64_u32 v[0:1], s[6:7], s8, v52, v[18:19]
	v_lshl_add_u64 v[4:5], s[12:13], 0, v[64:65]
	v_add_u32_e32 v1, s9, v1
	s_movk_i32 s6, 0x1000
	global_load_dwordx2 v[6:7], v[0:1], off
	v_add_co_u32_e32 v8, vcc, s6, v4
	v_mad_u64_u32 v[0:1], s[6:7], s8, v52, v[0:1]
	v_add_u32_e32 v1, s9, v1
	v_addc_co_u32_e32 v9, vcc, 0, v5, vcc
	global_load_dwordx2 v[18:19], v[0:1], off
	global_load_dwordx2 v[30:31], v[8:9], off offset:304
	v_mad_u64_u32 v[0:1], s[6:7], s8, v52, v[0:1]
	v_add_u32_e32 v1, s9, v1
	global_load_dwordx2 v[32:33], v[0:1], off
	v_mad_u64_u32 v[0:1], s[6:7], s8, v52, v[0:1]
	v_add_u32_e32 v1, s9, v1
	global_load_dwordx2 v[34:35], v[8:9], off offset:1184
	global_load_dwordx2 v[36:37], v[0:1], off
	global_load_dwordx2 v[38:39], v[8:9], off offset:2064
	global_load_dwordx2 v[40:41], v[8:9], off offset:2944
	v_mad_u64_u32 v[0:1], s[6:7], s8, v52, v[0:1]
	v_add_u32_e32 v1, s9, v1
	global_load_dwordx2 v[42:43], v[0:1], off
	global_load_dwordx2 v[44:45], v[8:9], off offset:3824
	v_mad_u64_u32 v[0:1], s[6:7], s8, v52, v[0:1]
	v_add_u32_e32 v1, s9, v1
	s_movk_i32 s6, 0x2000
	global_load_dwordx2 v[8:9], v[0:1], off
	v_add_co_u32_e32 v4, vcc, s6, v4
	v_mad_u64_u32 v[0:1], s[6:7], s8, v52, v[0:1]
	s_nop 0
	v_addc_co_u32_e32 v5, vcc, 0, v5, vcc
	v_add_u32_e32 v1, s9, v1
	global_load_dwordx2 v[46:47], v[4:5], off offset:608
	global_load_dwordx2 v[48:49], v[0:1], off
	global_load_dwordx2 v[50:51], v[4:5], off offset:1488
	v_mad_u64_u32 v[0:1], s[6:7], s8, v52, v[0:1]
	v_add_u32_e32 v1, s9, v1
	global_load_dwordx2 v[52:53], v[4:5], off offset:2368
	global_load_dwordx2 v[54:55], v[0:1], off
	v_add_u32_e32 v4, 0x400, v64
	s_waitcnt vmcnt(24)
	v_mul_f32_e32 v0, v3, v11
	v_mul_f32_e32 v1, v2, v11
	v_fmac_f32_e32 v0, v2, v10
	v_fma_f32 v1, v3, v10, -v1
	s_waitcnt vmcnt(20)
	v_mul_f32_e32 v2, v21, v13
	v_mul_f32_e32 v3, v20, v13
	v_fmac_f32_e32 v2, v20, v12
	v_fma_f32 v3, v21, v12, -v3
	ds_write2_b64 v64, v[0:1], v[2:3] offset1:110
	s_waitcnt vmcnt(19)
	v_mul_f32_e32 v0, v23, v15
	v_mul_f32_e32 v1, v22, v15
	s_waitcnt vmcnt(18)
	v_mul_f32_e32 v2, v25, v17
	v_mul_f32_e32 v3, v24, v17
	v_fmac_f32_e32 v0, v22, v14
	v_fma_f32 v1, v23, v14, -v1
	v_fmac_f32_e32 v2, v24, v16
	v_fma_f32 v3, v25, v16, -v3
	ds_write2_b64 v4, v[0:1], v[2:3] offset0:92 offset1:202
	s_waitcnt vmcnt(16)
	v_mul_f32_e32 v0, v27, v29
	v_mul_f32_e32 v1, v26, v29
	s_waitcnt vmcnt(13)
	v_mul_f32_e32 v2, v7, v31
	v_mul_f32_e32 v3, v6, v31
	v_fmac_f32_e32 v0, v26, v28
	v_fma_f32 v1, v27, v28, -v1
	v_fmac_f32_e32 v2, v6, v30
	v_fma_f32 v3, v7, v30, -v3
	v_add_u32_e32 v4, 0xc00, v64
	ds_write2_b64 v4, v[0:1], v[2:3] offset0:56 offset1:166
	s_waitcnt vmcnt(11)
	v_mul_f32_e32 v0, v19, v35
	v_mul_f32_e32 v1, v18, v35
	s_waitcnt vmcnt(9)
	v_mul_f32_e32 v2, v33, v39
	v_mul_f32_e32 v3, v32, v39
	v_fmac_f32_e32 v0, v18, v34
	v_fma_f32 v1, v19, v34, -v1
	v_fmac_f32_e32 v2, v32, v38
	v_fma_f32 v3, v33, v38, -v3
	v_add_u32_e32 v4, 0x1400, v64
	ds_write2_b64 v4, v[0:1], v[2:3] offset0:20 offset1:130
	s_waitcnt vmcnt(8)
	v_mul_f32_e32 v0, v37, v41
	v_mul_f32_e32 v1, v36, v41
	s_waitcnt vmcnt(6)
	v_mul_f32_e32 v2, v43, v45
	v_mul_f32_e32 v3, v42, v45
	v_fmac_f32_e32 v0, v36, v40
	v_fma_f32 v1, v37, v40, -v1
	v_fmac_f32_e32 v2, v42, v44
	v_fma_f32 v3, v43, v44, -v3
	v_add_u32_e32 v4, 0x1800, v64
	ds_write2_b64 v4, v[0:1], v[2:3] offset0:112 offset1:222
	s_waitcnt vmcnt(4)
	v_mul_f32_e32 v0, v9, v47
	v_mul_f32_e32 v1, v8, v47
	s_waitcnt vmcnt(2)
	v_mul_f32_e32 v2, v49, v51
	v_mul_f32_e32 v3, v48, v51
	v_fmac_f32_e32 v0, v8, v46
	v_fma_f32 v1, v9, v46, -v1
	v_fmac_f32_e32 v2, v48, v50
	v_fma_f32 v3, v49, v50, -v3
	v_add_u32_e32 v4, 0x2000, v64
	ds_write2_b64 v4, v[0:1], v[2:3] offset0:76 offset1:186
	s_waitcnt vmcnt(0)
	v_mul_f32_e32 v0, v55, v53
	v_mul_f32_e32 v1, v54, v53
	v_fmac_f32_e32 v0, v54, v52
	v_fma_f32 v1, v55, v52, -v1
	ds_write_b64 v64, v[0:1] offset:10560
.LBB0_3:
	s_or_b64 exec, exec, s[2:3]
	v_mov_b64_e32 v[0:1], 0
	s_waitcnt lgkmcnt(0)
	s_barrier
	s_waitcnt lgkmcnt(0)
                                        ; implicit-def: $vgpr6
                                        ; implicit-def: $vgpr12
                                        ; implicit-def: $vgpr10
                                        ; implicit-def: $vgpr20
                                        ; implicit-def: $vgpr18
                                        ; implicit-def: $vgpr24
	s_and_saveexec_b64 s[2:3], s[4:5]
	s_cbranch_execz .LBB0_5
; %bb.4:
	v_add_u32_e32 v4, 0x400, v64
	ds_read2_b64 v[16:19], v4 offset0:92 offset1:202
	v_add_u32_e32 v4, 0xc00, v64
	ds_read2_b64 v[8:11], v4 offset0:56 offset1:166
	v_add_u32_e32 v4, 0x1400, v64
	v_add_u32_e32 v12, 0x1800, v64
	;; [unrolled: 1-line block ×3, first 2 shown]
	ds_read2_b64 v[0:3], v64 offset1:110
	ds_read2_b64 v[4:7], v4 offset0:20 offset1:130
	ds_read2_b64 v[12:15], v12 offset0:112 offset1:222
	;; [unrolled: 1-line block ×3, first 2 shown]
	ds_read_b64 v[24:25], v64 offset:10560
.LBB0_5:
	s_or_b64 exec, exec, s[2:3]
	s_waitcnt lgkmcnt(0)
	v_pk_add_f32 v[56:57], v[24:25], v[2:3]
	v_pk_add_f32 v[60:61], v[2:3], v[24:25] neg_lo:[0,1] neg_hi:[0,1]
	v_pk_add_f32 v[2:3], v[2:3], v[0:1]
	s_mov_b32 s2, 0xbeedf032
	v_pk_add_f32 v[2:3], v[16:17], v[2:3]
	v_pk_add_f32 v[58:59], v[16:17], v[22:23] neg_lo:[0,1] neg_hi:[0,1]
	v_pk_add_f32 v[2:3], v[18:19], v[2:3]
	v_pk_add_f32 v[36:37], v[6:7], v[4:5]
	v_pk_add_f32 v[2:3], v[8:9], v[2:3]
	v_pk_add_f32 v[40:41], v[4:5], v[6:7] neg_lo:[0,1] neg_hi:[0,1]
	v_pk_add_f32 v[2:3], v[10:11], v[2:3]
	s_mov_b32 s8, 0x3f62ad3f
	v_pk_add_f32 v[2:3], v[4:5], v[2:3]
	v_pk_mul_f32 v[4:5], v[60:61], s[2:3] op_sel_hi:[1,0]
	v_pk_add_f32 v[2:3], v[6:7], v[2:3]
	s_mov_b32 s6, 0xbf52af12
	v_pk_add_f32 v[2:3], v[12:13], v[2:3]
	v_pk_add_f32 v[52:53], v[22:23], v[16:17]
	;; [unrolled: 1-line block ×5, first 2 shown]
	v_pk_add_f32 v[54:55], v[18:19], v[20:21] neg_lo:[0,1] neg_hi:[0,1]
	v_pk_add_f32 v[2:3], v[22:23], v[2:3]
	v_pk_add_f32 v[44:45], v[14:15], v[8:9]
	v_pk_add_f32 v[50:51], v[8:9], v[14:15] neg_lo:[0,1] neg_hi:[0,1]
	v_pk_add_f32 v[20:21], v[24:25], v[2:3]
	v_pk_fma_f32 v[2:3], v[56:57], s[8:9], v[4:5] op_sel:[0,0,1] op_sel_hi:[1,0,0]
	v_pk_fma_f32 v[18:19], v[56:57], s[8:9], v[4:5] op_sel:[0,0,1] op_sel_hi:[1,0,0] neg_lo:[0,0,1] neg_hi:[0,0,1]
	s_mov_b32 s10, 0x3f116cb1
	v_pk_mul_f32 v[8:9], v[58:59], s[6:7] op_sel:[1,0] op_sel_hi:[0,0]
	s_mov_b32 s30, 0xbf7e222b
	v_pk_add_f32 v[42:43], v[12:13], v[10:11]
	v_pk_add_f32 v[46:47], v[10:11], v[12:13] neg_lo:[0,1] neg_hi:[0,1]
	v_mov_b32_e32 v5, v19
	v_pk_fma_f32 v[6:7], v[52:53], s[10:11], v[8:9] op_sel_hi:[1,0,1]
	v_pk_fma_f32 v[22:23], v[52:53], s[10:11], v[8:9] op_sel_hi:[1,0,1] neg_lo:[0,0,1] neg_hi:[0,0,1]
	s_mov_b32 s18, 0xbf6f5d39
	s_mov_b32 s2, 0x3df6dbef
	v_pk_mul_f32 v[12:13], v[54:55], s[30:31] op_sel:[1,0] op_sel_hi:[0,0]
	v_mov_b32_e32 v19, v3
	v_mov_b32_e32 v9, v23
	s_mov_b32 s16, 0xbeb58ec6
	v_pk_fma_f32 v[10:11], v[48:49], s[2:3], v[12:13] op_sel_hi:[1,0,1]
	v_pk_fma_f32 v[24:25], v[48:49], s[2:3], v[12:13] op_sel_hi:[1,0,1] neg_lo:[0,0,1] neg_hi:[0,0,1]
	v_pk_mul_f32 v[16:17], v[50:51], s[18:19] op_sel:[1,0] op_sel_hi:[0,0]
	s_mov_b32 s26, 0xbf29c268
	v_pk_add_f32 v[18:19], v[18:19], v[0:1]
	v_mov_b32_e32 v23, v7
	v_mov_b32_e32 v13, v25
	s_mov_b32 s22, 0xbe750f2a
	v_pk_fma_f32 v[14:15], v[44:45], s[16:17], v[16:17] op_sel_hi:[1,0,1]
	v_pk_fma_f32 v[26:27], v[44:45], s[16:17], v[16:17] op_sel_hi:[1,0,1] neg_lo:[0,0,1] neg_hi:[0,0,1]
	s_mov_b32 s24, 0xbf3f9e67
	v_pk_mul_f32 v[28:29], v[46:47], s[26:27] op_sel:[1,0] op_sel_hi:[0,0]
	v_pk_add_f32 v[22:23], v[22:23], v[18:19]
	v_mov_b32_e32 v25, v11
	s_mov_b32 s20, 0xbf788fa5
	v_mov_b32_e32 v17, v27
	v_pk_fma_f32 v[18:19], v[42:43], s[24:25], v[28:29] op_sel_hi:[1,0,1]
	v_pk_fma_f32 v[28:29], v[42:43], s[24:25], v[28:29] op_sel_hi:[1,0,1] neg_lo:[0,0,1] neg_hi:[0,0,1]
	v_pk_add_f32 v[22:23], v[24:25], v[22:23]
	v_mov_b32_e32 v27, v15
	v_pk_mul_f32 v[24:25], v[40:41], s[22:23] op_sel:[1,0] op_sel_hi:[0,0]
	v_mov_b32_e32 v3, v29
	v_pk_add_f32 v[22:23], v[26:27], v[22:23]
	v_mov_b32_e32 v29, v19
	v_pk_fma_f32 v[32:33], v[36:37], s[20:21], v[24:25] op_sel_hi:[1,0,1] neg_lo:[0,0,1] neg_hi:[0,0,1]
	v_pk_fma_f32 v[34:35], v[36:37], s[20:21], v[24:25] op_sel_hi:[1,0,1]
	v_pk_add_f32 v[22:23], v[28:29], v[22:23]
	v_mov_b32_e32 v24, v32
	v_mov_b32_e32 v25, v35
	v_pk_add_f32 v[22:23], v[24:25], v[22:23]
	v_pk_mul_f32 v[24:25], v[60:61], s[6:7] op_sel_hi:[1,0]
	v_pk_mul_f32 v[26:27], v[58:59], s[18:19] op_sel:[1,0] op_sel_hi:[0,0]
	v_pk_fma_f32 v[62:63], v[56:57], s[10:11], v[24:25] op_sel:[0,0,1] op_sel_hi:[1,0,0]
	v_pk_fma_f32 v[24:25], v[56:57], s[10:11], v[24:25] op_sel:[0,0,1] op_sel_hi:[1,0,0] neg_lo:[0,0,1] neg_hi:[0,0,1]
	v_pk_fma_f32 v[38:39], v[52:53], s[16:17], v[26:27] op_sel_hi:[1,0,1]
	v_pk_fma_f32 v[26:27], v[52:53], s[16:17], v[26:27] op_sel_hi:[1,0,1] neg_lo:[0,0,1] neg_hi:[0,0,1]
	v_mov_b32_e32 v69, v25
	v_mov_b32_e32 v25, v63
	v_pk_add_f32 v[24:25], v[24:25], v[0:1]
	v_mov_b32_e32 v7, v27
	v_mov_b32_e32 v27, v39
	v_pk_add_f32 v[24:25], v[26:27], v[24:25]
	v_pk_mul_f32 v[26:27], v[54:55], s[22:23] op_sel:[1,0] op_sel_hi:[0,0]
	v_pk_fma_f32 v[70:71], v[48:49], s[20:21], v[26:27] op_sel_hi:[1,0,1]
	v_pk_fma_f32 v[26:27], v[48:49], s[20:21], v[26:27] op_sel_hi:[1,0,1] neg_lo:[0,0,1] neg_hi:[0,0,1]
	s_mov_b32 s36, 0x3f29c268
	v_mov_b32_e32 v11, v27
	v_mov_b32_e32 v27, v71
	v_pk_add_f32 v[24:25], v[26:27], v[24:25]
	v_pk_mul_f32 v[26:27], v[50:51], s[36:37] op_sel:[1,0] op_sel_hi:[0,0]
	v_pk_fma_f32 v[72:73], v[44:45], s[24:25], v[26:27] op_sel_hi:[1,0,1]
	v_pk_fma_f32 v[26:27], v[44:45], s[24:25], v[26:27] op_sel_hi:[1,0,1] neg_lo:[0,0,1] neg_hi:[0,0,1]
	s_mov_b32 s28, 0x3f7e222b
	v_mov_b32_e32 v15, v27
	v_mov_b32_e32 v27, v73
	v_pk_add_f32 v[24:25], v[26:27], v[24:25]
	v_pk_mul_f32 v[26:27], v[46:47], s[28:29] op_sel:[1,0] op_sel_hi:[0,0]
	v_pk_fma_f32 v[74:75], v[42:43], s[2:3], v[26:27] op_sel_hi:[1,0,1]
	v_pk_fma_f32 v[26:27], v[42:43], s[2:3], v[26:27] op_sel_hi:[1,0,1] neg_lo:[0,0,1] neg_hi:[0,0,1]
	v_pk_mul_f32 v[28:29], v[58:59], s[22:23] op_sel:[1,0] op_sel_hi:[0,0]
	v_mov_b32_e32 v19, v27
	v_mov_b32_e32 v27, v75
	v_pk_add_f32 v[24:25], v[26:27], v[24:25]
	v_pk_mul_f32 v[26:27], v[60:61], s[30:31] op_sel_hi:[1,0]
	v_pk_fma_f32 v[78:79], v[52:53], s[20:21], v[28:29] op_sel_hi:[1,0,1]
	v_pk_fma_f32 v[76:77], v[56:57], s[2:3], v[26:27] op_sel:[0,0,1] op_sel_hi:[1,0,0]
	v_pk_fma_f32 v[26:27], v[56:57], s[2:3], v[26:27] op_sel:[0,0,1] op_sel_hi:[1,0,0] neg_lo:[0,0,1] neg_hi:[0,0,1]
	v_pk_fma_f32 v[28:29], v[52:53], s[20:21], v[28:29] op_sel_hi:[1,0,1] neg_lo:[0,0,1] neg_hi:[0,0,1]
	v_mov_b32_e32 v39, v27
	v_mov_b32_e32 v27, v77
	;; [unrolled: 1-line block ×4, first 2 shown]
	v_pk_add_f32 v[26:27], v[26:27], v[0:1]
	s_mov_b32 s34, 0x3f6f5d39
	v_pk_add_f32 v[26:27], v[28:29], v[26:27]
	v_pk_mul_f32 v[28:29], v[54:55], s[34:35] op_sel:[1,0] op_sel_hi:[0,0]
	v_pk_fma_f32 v[80:81], v[48:49], s[16:17], v[28:29] op_sel_hi:[1,0,1]
	v_pk_fma_f32 v[28:29], v[48:49], s[16:17], v[28:29] op_sel_hi:[1,0,1] neg_lo:[0,0,1] neg_hi:[0,0,1]
	s_mov_b32 s34, 0x3eedf032
	v_mov_b32_e32 v73, v29
	v_mov_b32_e32 v29, v81
	v_pk_add_f32 v[26:27], v[28:29], v[26:27]
	v_pk_mul_f32 v[28:29], v[50:51], s[34:35] op_sel:[1,0] op_sel_hi:[0,0]
	v_pk_fma_f32 v[82:83], v[44:45], s[8:9], v[28:29] op_sel_hi:[1,0,1]
	v_pk_fma_f32 v[28:29], v[44:45], s[8:9], v[28:29] op_sel_hi:[1,0,1] neg_lo:[0,0,1] neg_hi:[0,0,1]
	v_pk_mul_f32 v[30:31], v[58:59], s[36:37] op_sel:[1,0] op_sel_hi:[0,0]
	v_mov_b32_e32 v75, v29
	v_mov_b32_e32 v29, v83
	v_pk_add_f32 v[26:27], v[28:29], v[26:27]
	v_pk_mul_f32 v[28:29], v[46:47], s[6:7] op_sel:[1,0] op_sel_hi:[0,0]
	v_pk_fma_f32 v[84:85], v[42:43], s[10:11], v[28:29] op_sel_hi:[1,0,1]
	v_pk_fma_f32 v[28:29], v[42:43], s[10:11], v[28:29] op_sel_hi:[1,0,1] neg_lo:[0,0,1] neg_hi:[0,0,1]
	v_pk_fma_f32 v[96:97], v[52:53], s[24:25], v[30:31] op_sel_hi:[1,0,1]
	v_mov_b32_e32 v77, v29
	v_mov_b32_e32 v29, v85
	v_pk_add_f32 v[26:27], v[28:29], v[26:27]
	v_pk_mul_f32 v[28:29], v[40:41], s[34:35] op_sel:[1,0] op_sel_hi:[0,0]
	v_pk_fma_f32 v[86:87], v[36:37], s[8:9], v[28:29] op_sel_hi:[1,0,1] neg_lo:[0,0,1] neg_hi:[0,0,1]
	v_pk_fma_f32 v[88:89], v[36:37], s[8:9], v[28:29] op_sel_hi:[1,0,1]
	v_mov_b32_e32 v28, v86
	v_mov_b32_e32 v29, v89
	v_pk_add_f32 v[24:25], v[28:29], v[24:25]
	v_pk_mul_f32 v[28:29], v[40:41], s[26:27] op_sel:[1,0] op_sel_hi:[0,0]
	v_pk_fma_f32 v[90:91], v[36:37], s[24:25], v[28:29] op_sel_hi:[1,0,1] neg_lo:[0,0,1] neg_hi:[0,0,1]
	v_pk_fma_f32 v[92:93], v[36:37], s[24:25], v[28:29] op_sel_hi:[1,0,1]
	v_mov_b32_e32 v28, v90
	v_mov_b32_e32 v29, v93
	v_pk_add_f32 v[26:27], v[28:29], v[26:27]
	v_pk_mul_f32 v[28:29], v[60:61], s[18:19] op_sel_hi:[1,0]
	v_pk_fma_f32 v[30:31], v[52:53], s[24:25], v[30:31] op_sel_hi:[1,0,1] neg_lo:[0,0,1] neg_hi:[0,0,1]
	v_pk_fma_f32 v[94:95], v[56:57], s[16:17], v[28:29] op_sel:[0,0,1] op_sel_hi:[1,0,0]
	v_pk_fma_f32 v[28:29], v[56:57], s[16:17], v[28:29] op_sel:[0,0,1] op_sel_hi:[1,0,0] neg_lo:[0,0,1] neg_hi:[0,0,1]
	v_mov_b32_e32 v81, v31
	v_mov_b32_e32 v79, v29
	;; [unrolled: 1-line block ×4, first 2 shown]
	v_pk_add_f32 v[28:29], v[28:29], v[0:1]
	v_pk_mul_f32 v[106:107], v[58:59], s[28:29] op_sel:[1,0] op_sel_hi:[0,0]
	v_pk_add_f32 v[28:29], v[30:31], v[28:29]
	v_pk_mul_f32 v[30:31], v[54:55], s[34:35] op_sel:[1,0] op_sel_hi:[0,0]
	v_pk_fma_f32 v[98:99], v[48:49], s[8:9], v[30:31] op_sel_hi:[1,0,1]
	v_pk_fma_f32 v[30:31], v[48:49], s[8:9], v[30:31] op_sel_hi:[1,0,1] neg_lo:[0,0,1] neg_hi:[0,0,1]
	v_mov_b32_e32 v4, v2
	v_mov_b32_e32 v83, v31
	;; [unrolled: 1-line block ×3, first 2 shown]
	v_pk_add_f32 v[28:29], v[30:31], v[28:29]
	v_pk_mul_f32 v[30:31], v[50:51], s[30:31] op_sel:[1,0] op_sel_hi:[0,0]
	v_pk_fma_f32 v[100:101], v[44:45], s[2:3], v[30:31] op_sel_hi:[1,0,1]
	v_pk_fma_f32 v[30:31], v[44:45], s[2:3], v[30:31] op_sel_hi:[1,0,1] neg_lo:[0,0,1] neg_hi:[0,0,1]
	s_mov_b32 s30, 0x3e750f2a
	v_mov_b32_e32 v85, v31
	v_mov_b32_e32 v31, v101
	v_pk_add_f32 v[28:29], v[30:31], v[28:29]
	v_pk_mul_f32 v[30:31], v[46:47], s[30:31] op_sel:[1,0] op_sel_hi:[0,0]
	v_pk_fma_f32 v[102:103], v[42:43], s[20:21], v[30:31] op_sel_hi:[1,0,1]
	v_pk_fma_f32 v[30:31], v[42:43], s[20:21], v[30:31] op_sel_hi:[1,0,1] neg_lo:[0,0,1] neg_hi:[0,0,1]
	v_pk_fma_f32 v[108:109], v[52:53], s[2:3], v[106:107] op_sel_hi:[1,0,1]
	v_mov_b32_e32 v95, v31
	v_mov_b32_e32 v31, v103
	v_pk_add_f32 v[28:29], v[30:31], v[28:29]
	v_pk_mul_f32 v[30:31], v[60:61], s[26:27] op_sel_hi:[1,0]
	v_pk_fma_f32 v[106:107], v[52:53], s[2:3], v[106:107] op_sel_hi:[1,0,1] neg_lo:[0,0,1] neg_hi:[0,0,1]
	v_pk_fma_f32 v[104:105], v[56:57], s[24:25], v[30:31] op_sel:[0,0,1] op_sel_hi:[1,0,0]
	v_pk_fma_f32 v[30:31], v[56:57], s[24:25], v[30:31] op_sel:[0,0,1] op_sel_hi:[1,0,0] neg_lo:[0,0,1] neg_hi:[0,0,1]
	v_mov_b32_e32 v8, v6
	v_mov_b32_e32 v97, v31
	;; [unrolled: 1-line block ×3, first 2 shown]
	v_pk_add_f32 v[4:5], v[4:5], v[0:1]
	v_mov_b32_e32 v99, v107
	v_mov_b32_e32 v107, v109
	v_pk_add_f32 v[30:31], v[30:31], v[0:1]
	v_pk_add_f32 v[4:5], v[8:9], v[4:5]
	v_mov_b32_e32 v12, v10
	v_pk_add_f32 v[30:31], v[106:107], v[30:31]
	v_pk_mul_f32 v[106:107], v[54:55], s[6:7] op_sel:[1,0] op_sel_hi:[0,0]
	v_pk_add_f32 v[4:5], v[12:13], v[4:5]
	v_mov_b32_e32 v16, v14
	v_pk_fma_f32 v[110:111], v[48:49], s[10:11], v[106:107] op_sel_hi:[1,0,1]
	v_pk_fma_f32 v[106:107], v[48:49], s[10:11], v[106:107] op_sel_hi:[1,0,1] neg_lo:[0,0,1] neg_hi:[0,0,1]
	v_pk_add_f32 v[4:5], v[16:17], v[4:5]
	v_mov_b32_e32 v2, v18
	v_mov_b32_e32 v101, v107
	;; [unrolled: 1-line block ×4, first 2 shown]
	v_pk_add_f32 v[2:3], v[2:3], v[4:5]
	v_mov_b32_e32 v35, v33
	v_mov_b32_e32 v38, v76
	v_pk_add_f32 v[30:31], v[106:107], v[30:31]
	v_pk_mul_f32 v[106:107], v[50:51], s[30:31] op_sel:[1,0] op_sel_hi:[0,0]
	v_mov_b32_e32 v68, v62
	v_mov_b32_e32 v10, v70
	v_pk_add_f32 v[70:71], v[34:35], v[2:3]
	v_mov_b32_e32 v62, v78
	v_pk_add_f32 v[2:3], v[38:39], v[0:1]
	v_pk_fma_f32 v[112:113], v[44:45], s[20:21], v[106:107] op_sel_hi:[1,0,1]
	v_pk_fma_f32 v[106:107], v[44:45], s[20:21], v[106:107] op_sel_hi:[1,0,1] neg_lo:[0,0,1] neg_hi:[0,0,1]
	v_mov_b32_e32 v14, v72
	v_mov_b32_e32 v72, v80
	v_pk_add_f32 v[2:3], v[62:63], v[2:3]
	v_mov_b32_e32 v103, v107
	v_mov_b32_e32 v107, v113
	v_mov_b32_e32 v18, v74
	v_mov_b32_e32 v74, v82
	v_pk_add_f32 v[2:3], v[72:73], v[2:3]
	v_pk_add_f32 v[30:31], v[106:107], v[30:31]
	v_pk_mul_f32 v[106:107], v[46:47], s[34:35] op_sel:[1,0] op_sel_hi:[0,0]
	v_pk_add_f32 v[8:9], v[68:69], v[0:1]
	v_mov_b32_e32 v76, v84
	v_pk_add_f32 v[2:3], v[74:75], v[2:3]
	v_pk_fma_f32 v[114:115], v[42:43], s[8:9], v[106:107] op_sel_hi:[1,0,1]
	v_pk_fma_f32 v[106:107], v[42:43], s[8:9], v[106:107] op_sel_hi:[1,0,1] neg_lo:[0,0,1] neg_hi:[0,0,1]
	v_pk_add_f32 v[6:7], v[6:7], v[8:9]
	v_pk_add_f32 v[2:3], v[76:77], v[2:3]
	v_mov_b32_e32 v93, v91
	v_mov_b32_e32 v78, v94
	;; [unrolled: 1-line block ×4, first 2 shown]
	s_mov_b32 s30, 0x3f52af12
	v_pk_add_f32 v[6:7], v[10:11], v[6:7]
	v_pk_add_f32 v[62:63], v[92:93], v[2:3]
	v_mov_b32_e32 v80, v96
	v_pk_add_f32 v[2:3], v[78:79], v[0:1]
	v_pk_add_f32 v[30:31], v[106:107], v[30:31]
	v_pk_mul_f32 v[106:107], v[40:41], s[30:31] op_sel:[1,0] op_sel_hi:[0,0]
	v_pk_add_f32 v[6:7], v[14:15], v[6:7]
	v_mov_b32_e32 v82, v98
	v_pk_add_f32 v[2:3], v[80:81], v[2:3]
	v_mov_b32_e32 v96, v104
	v_pk_fma_f32 v[116:117], v[36:37], s[10:11], v[106:107] op_sel_hi:[1,0,1] neg_lo:[0,0,1] neg_hi:[0,0,1]
	v_pk_fma_f32 v[106:107], v[36:37], s[10:11], v[106:107] op_sel_hi:[1,0,1]
	v_pk_add_f32 v[4:5], v[18:19], v[6:7]
	v_mov_b32_e32 v84, v100
	v_pk_add_f32 v[2:3], v[82:83], v[2:3]
	v_mov_b32_e32 v98, v108
	;; [unrolled: 2-line block ×3, first 2 shown]
	v_mov_b32_e32 v119, v107
	v_mov_b32_e32 v94, v102
	v_pk_add_f32 v[2:3], v[84:85], v[2:3]
	v_mov_b32_e32 v100, v110
	v_pk_add_f32 v[6:7], v[98:99], v[6:7]
	v_pk_add_f32 v[28:29], v[118:119], v[28:29]
	v_pk_mul_f32 v[118:119], v[40:41], s[18:19] op_sel:[1,0] op_sel_hi:[0,0]
	v_pk_add_f32 v[2:3], v[94:95], v[2:3]
	v_mov_b32_e32 v107, v117
	v_mov_b32_e32 v102, v112
	v_pk_add_f32 v[6:7], v[100:101], v[6:7]
	v_pk_fma_f32 v[120:121], v[36:37], s[16:17], v[118:119] op_sel_hi:[1,0,1] neg_lo:[0,0,1] neg_hi:[0,0,1]
	v_pk_fma_f32 v[118:119], v[36:37], s[16:17], v[118:119] op_sel_hi:[1,0,1]
	v_mov_b32_e32 v89, v87
	v_mov_b32_e32 v104, v114
	v_pk_add_f32 v[6:7], v[102:103], v[6:7]
	v_pk_add_f32 v[34:35], v[106:107], v[2:3]
	v_pk_mul_f32 v[2:3], v[60:61], s[22:23] op_sel_hi:[1,0]
	v_mov_b32_e32 v123, v119
	v_pk_add_f32 v[6:7], v[104:105], v[6:7]
	v_pk_add_f32 v[38:39], v[88:89], v[4:5]
	v_mov_b32_e32 v119, v121
	v_pk_fma_f32 v[4:5], v[56:57], s[20:21], v[2:3] op_sel:[0,0,1] op_sel_hi:[1,0,0]
	v_pk_fma_f32 v[2:3], v[56:57], s[20:21], v[2:3] op_sel:[0,0,1] op_sel_hi:[1,0,0] neg_lo:[0,0,1] neg_hi:[0,0,1]
	v_pk_mul_f32 v[8:9], v[58:59], s[34:35] op_sel:[1,0] op_sel_hi:[0,0]
	v_pk_add_f32 v[32:33], v[118:119], v[6:7]
	v_mov_b32_e32 v6, v4
	v_mov_b32_e32 v7, v3
	v_pk_fma_f32 v[10:11], v[52:53], s[8:9], v[8:9] op_sel_hi:[1,0,1]
	v_pk_fma_f32 v[8:9], v[52:53], s[8:9], v[8:9] op_sel_hi:[1,0,1] neg_lo:[0,0,1] neg_hi:[0,0,1]
	v_pk_mul_f32 v[14:15], v[54:55], s[26:27] op_sel:[1,0] op_sel_hi:[0,0]
	v_pk_mul_f32 v[18:19], v[50:51], s[30:31] op_sel:[1,0] op_sel_hi:[0,0]
	v_mov_b32_e32 v12, v10
	v_mov_b32_e32 v13, v9
	v_pk_fma_f32 v[16:17], v[48:49], s[24:25], v[14:15] op_sel_hi:[1,0,1]
	v_pk_fma_f32 v[14:15], v[48:49], s[24:25], v[14:15] op_sel_hi:[1,0,1] neg_lo:[0,0,1] neg_hi:[0,0,1]
	v_pk_fma_f32 v[48:49], v[44:45], s[10:11], v[18:19] op_sel_hi:[1,0,1]
	v_pk_fma_f32 v[18:19], v[44:45], s[10:11], v[18:19] op_sel_hi:[1,0,1] neg_lo:[0,0,1] neg_hi:[0,0,1]
	v_pk_mul_f32 v[44:45], v[46:47], s[18:19] op_sel:[1,0] op_sel_hi:[0,0]
	v_pk_add_f32 v[6:7], v[6:7], v[0:1]
	v_mov_b32_e32 v3, v5
	v_pk_fma_f32 v[46:47], v[42:43], s[16:17], v[44:45] op_sel_hi:[1,0,1]
	v_pk_fma_f32 v[42:43], v[42:43], s[16:17], v[44:45] op_sel_hi:[1,0,1] neg_lo:[0,0,1] neg_hi:[0,0,1]
	v_mov_b32_e32 v44, v16
	v_mov_b32_e32 v45, v15
	v_pk_add_f32 v[6:7], v[12:13], v[6:7]
	v_mov_b32_e32 v9, v11
	v_pk_add_f32 v[0:1], v[2:3], v[0:1]
	s_load_dwordx2 s[6:7], s[0:1], 0x8
	v_mov_b32_e32 v12, v48
	v_mov_b32_e32 v13, v19
	v_pk_add_f32 v[6:7], v[44:45], v[6:7]
	v_mov_b32_e32 v15, v17
	v_pk_add_f32 v[0:1], v[8:9], v[0:1]
	v_pk_add_f32 v[6:7], v[12:13], v[6:7]
	v_pk_mul_f32 v[12:13], v[40:41], s[28:29] op_sel:[1,0] op_sel_hi:[0,0]
	v_mov_b32_e32 v19, v49
	v_pk_add_f32 v[0:1], v[14:15], v[0:1]
	v_mov_b32_e32 v44, v46
	v_mov_b32_e32 v45, v43
	v_mov_b32_e32 v43, v47
	v_pk_add_f32 v[0:1], v[18:19], v[0:1]
	v_pk_fma_f32 v[2:3], v[36:37], s[2:3], v[12:13] op_sel_hi:[1,0,1] neg_lo:[0,0,1] neg_hi:[0,0,1]
	v_pk_fma_f32 v[4:5], v[36:37], s[2:3], v[12:13] op_sel_hi:[1,0,1]
	v_mov_b32_e32 v122, v120
	v_pk_add_f32 v[6:7], v[44:45], v[6:7]
	v_pk_add_f32 v[0:1], v[42:43], v[0:1]
	v_mov_b32_e32 v8, v2
	v_mov_b32_e32 v9, v5
	;; [unrolled: 1-line block ×3, first 2 shown]
	v_pk_add_f32 v[30:31], v[122:123], v[30:31]
	v_pk_add_f32 v[40:41], v[8:9], v[0:1]
	;; [unrolled: 1-line block ×3, first 2 shown]
	v_mul_lo_u16_e32 v148, 13, v67
	s_waitcnt lgkmcnt(0)
	s_barrier
	s_and_saveexec_b64 s[2:3], s[4:5]
	s_cbranch_execz .LBB0_7
; %bb.6:
	v_lshlrev_b32_e32 v0, 3, v148
	ds_write2_b64 v0, v[20:21], v[22:23] offset1:1
	ds_write2_b64 v0, v[24:25], v[26:27] offset0:2 offset1:3
	ds_write2_b64 v0, v[28:29], v[30:31] offset0:4 offset1:5
	;; [unrolled: 1-line block ×5, first 2 shown]
	ds_write_b64 v0, v[70:71] offset:96
.LBB0_7:
	s_or_b64 exec, exec, s[2:3]
	s_load_dwordx2 s[0:1], s[0:1], 0x20
	s_movk_i32 s2, 0x82
	v_cmp_gt_u16_e64 s[2:3], s2, v67
	s_waitcnt lgkmcnt(0)
	s_barrier
	s_and_saveexec_b64 s[8:9], s[2:3]
	s_cbranch_execz .LBB0_9
; %bb.8:
	v_add_u32_e32 v0, 0x800, v64
	ds_read2_b64 v[24:27], v0 offset0:4 offset1:134
	v_add_u32_e32 v0, 0x1000, v64
	ds_read2_b64 v[28:31], v0 offset0:8 offset1:138
	;; [unrolled: 2-line block ×3, first 2 shown]
	v_add_u32_e32 v0, 0x2000, v64
	ds_read2_b64 v[20:23], v64 offset1:130
	ds_read2_b64 v[32:35], v0 offset0:16 offset1:146
	ds_read_b64 v[62:63], v64 offset:10400
.LBB0_9:
	s_or_b64 exec, exec, s[8:9]
	s_movk_i32 s8, 0x4f
	v_mul_lo_u16_sdwa v0, v67, s8 dst_sel:DWORD dst_unused:UNUSED_PAD src0_sel:BYTE_0 src1_sel:DWORD
	v_lshrrev_b16_e32 v146, 10, v0
	v_mul_lo_u16_e32 v0, 13, v146
	v_sub_u16_e32 v0, v67, v0
	v_and_b32_e32 v147, 0xff, v0
	v_mul_u32_u24_e32 v0, 10, v147
	v_lshlrev_b32_e32 v36, 3, v0
	global_load_dwordx4 v[0:3], v36, s[6:7]
	global_load_dwordx4 v[4:7], v36, s[6:7] offset:16
	global_load_dwordx4 v[8:11], v36, s[6:7] offset:48
	;; [unrolled: 1-line block ×4, first 2 shown]
	s_waitcnt lgkmcnt(2)
	v_mov_b32_e32 v36, v23
	s_mov_b32 s26, 0xbf0a6770
	s_mov_b32 s16, 0x3f575c64
	;; [unrolled: 1-line block ×10, first 2 shown]
	s_waitcnt lgkmcnt(0)
	s_barrier
	s_waitcnt vmcnt(4)
	v_pk_mul_f32 v[44:45], v[22:23], v[0:1]
	s_nop 0
	v_mov_b32_e32 v44, v1
	s_waitcnt vmcnt(2)
	v_pk_mul_f32 v[52:53], v[32:33], v[10:11] op_sel:[1,0]
	s_waitcnt vmcnt(1)
	v_pk_mul_f32 v[54:55], v[34:35], v[16:17] op_sel:[1,0]
	v_pk_mul_f32 v[56:57], v[62:63], v[18:19] op_sel:[1,0]
	;; [unrolled: 1-line block ×5, first 2 shown]
	s_waitcnt vmcnt(0)
	v_pk_mul_f32 v[60:61], v[30:31], v[12:13] op_sel:[1,0]
	v_pk_mul_f32 v[68:69], v[40:41], v[14:15] op_sel:[1,0]
	v_pk_mul_f32 v[72:73], v[42:43], v[8:9] op_sel:[1,0]
	v_mov_b32_e32 v74, v45
	v_pk_mul_f32 v[76:77], v[22:23], v[44:45]
	v_pk_fma_f32 v[44:45], v[32:33], v[10:11], v[52:53] op_sel:[0,0,1] op_sel_hi:[1,1,0] neg_lo:[0,0,1] neg_hi:[0,0,1]
	v_pk_fma_f32 v[78:79], v[32:33], v[10:11], v[52:53] op_sel:[0,0,1] op_sel_hi:[0,1,0]
	v_pk_fma_f32 v[32:33], v[34:35], v[16:17], v[54:55] op_sel:[0,0,1] op_sel_hi:[1,1,0] neg_lo:[0,0,1] neg_hi:[0,0,1]
	v_pk_fma_f32 v[80:81], v[34:35], v[16:17], v[54:55] op_sel:[0,0,1] op_sel_hi:[0,1,0]
	;; [unrolled: 2-line block ×9, first 2 shown]
	v_pk_fma_f32 v[42:43], v[22:23], v[0:1], v[74:75] neg_lo:[0,0,1] neg_hi:[0,0,1]
	v_pk_fma_f32 v[56:57], v[36:37], v[0:1], v[76:77]
	v_mov_b32_e32 v35, v63
	v_mov_b32_e32 v22, v63
	;; [unrolled: 1-line block ×3, first 2 shown]
	v_pk_add_f32 v[86:87], v[42:43], v[34:35] neg_lo:[0,1] neg_hi:[0,1]
	v_pk_add_f32 v[28:29], v[56:57], v[22:23] neg_lo:[0,1] neg_hi:[0,1]
	v_mov_b32_e32 v47, v25
	v_mov_b32_e32 v33, v81
	;; [unrolled: 1-line block ×3, first 2 shown]
	v_pk_add_f32 v[76:77], v[42:43], v[34:35]
	v_pk_add_f32 v[88:89], v[56:57], v[22:23]
	v_mov_b32_e32 v30, v28
	v_mov_b32_e32 v31, v86
	;; [unrolled: 1-line block ×4, first 2 shown]
	v_pk_add_f32 v[90:91], v[46:47], v[32:33] neg_lo:[0,1] neg_hi:[0,1]
	v_mov_b32_e32 v77, v88
	v_pk_mul_f32 v[30:31], v[30:31], s[26:27] op_sel_hi:[1,0]
	v_mov_b32_e32 v41, v61
	v_pk_add_f32 v[26:27], v[46:47], v[32:33]
	v_pk_add_f32 v[92:93], v[48:49], v[44:45] neg_lo:[0,1] neg_hi:[0,1]
	v_pk_mul_f32 v[36:37], v[90:91], s[8:9] op_sel:[1,0] op_sel_hi:[0,0]
	v_pk_fma_f32 v[78:79], v[76:77], s[16:17], v[30:31] op_sel_hi:[1,0,1]
	v_pk_fma_f32 v[80:81], v[76:77], s[16:17], v[30:31] op_sel_hi:[1,0,1] neg_lo:[0,0,1] neg_hi:[0,0,1]
	v_mov_b32_e32 v55, v59
	v_pk_add_f32 v[24:25], v[48:49], v[44:45]
	v_pk_add_f32 v[94:95], v[50:51], v[40:41] neg_lo:[0,1] neg_hi:[0,1]
	v_pk_mul_f32 v[58:59], v[92:93], s[10:11] op_sel:[1,0] op_sel_hi:[0,0]
	v_pk_fma_f32 v[72:73], v[26:27], s[20:21], v[36:37] op_sel_hi:[1,0,1]
	v_pk_fma_f32 v[74:75], v[26:27], s[20:21], v[36:37] op_sel_hi:[1,0,1] neg_lo:[0,0,1] neg_hi:[0,0,1]
	v_mov_b32_e32 v82, v78
	v_mov_b32_e32 v83, v81
	v_pk_add_f32 v[22:23], v[50:51], v[40:41]
	v_pk_mul_f32 v[60:61], v[94:95], s[18:19] op_sel:[1,0] op_sel_hi:[0,0]
	v_pk_fma_f32 v[62:63], v[24:25], s[22:23], v[58:59] op_sel_hi:[1,0,1]
	v_pk_fma_f32 v[68:69], v[24:25], s[22:23], v[58:59] op_sel_hi:[1,0,1] neg_lo:[0,0,1] neg_hi:[0,0,1]
	v_mov_b32_e32 v30, v72
	v_mov_b32_e32 v31, v75
	v_pk_add_f32 v[82:83], v[20:21], v[82:83]
	v_pk_fma_f32 v[58:59], v[22:23], s[24:25], v[60:61] op_sel_hi:[1,0,1]
	v_pk_fma_f32 v[60:61], v[22:23], s[24:25], v[60:61] op_sel_hi:[1,0,1] neg_lo:[0,0,1] neg_hi:[0,0,1]
	v_mov_b32_e32 v36, v62
	v_mov_b32_e32 v37, v69
	v_pk_add_f32 v[30:31], v[30:31], v[82:83]
	v_pk_add_f32 v[96:97], v[52:53], v[54:55] neg_lo:[0,1] neg_hi:[0,1]
	v_pk_add_f32 v[30:31], v[36:37], v[30:31]
	v_mov_b32_e32 v36, v58
	v_mov_b32_e32 v37, v61
	v_pk_add_f32 v[36:37], v[36:37], v[30:31]
	v_pk_add_f32 v[30:31], v[52:53], v[54:55]
	v_pk_mul_f32 v[84:85], v[96:97], s[30:31] op_sel:[1,0] op_sel_hi:[0,0]
	v_pk_fma_f32 v[82:83], v[30:31], s[34:35], v[84:85] op_sel_hi:[1,0,1]
	v_pk_fma_f32 v[84:85], v[30:31], s[34:35], v[84:85] op_sel_hi:[1,0,1] neg_lo:[0,0,1] neg_hi:[0,0,1]
	v_mov_b32_e32 v98, v82
	v_mov_b32_e32 v99, v85
	v_pk_add_f32 v[36:37], v[98:99], v[36:37]
	s_and_saveexec_b64 s[28:29], s[2:3]
	s_cbranch_execz .LBB0_11
; %bb.10:
	v_mul_u32_u24_e32 v43, 0x8f, v146
	v_add_lshl_u32 v65, v43, v147, 3
	v_mov_b32_e32 v43, v56
	v_pk_add_f32 v[42:43], v[20:21], v[42:43]
	v_mov_b32_e32 v81, v79
	v_pk_add_f32 v[42:43], v[42:43], v[46:47]
	;; [unrolled: 2-line block ×6, first 2 shown]
	s_mov_b32 s35, s30
	v_pk_add_f32 v[40:41], v[42:43], v[40:41]
	s_mov_b32 s25, s18
	v_pk_add_f32 v[40:41], v[40:41], v[44:45]
	;; [unrolled: 2-line block ×4, first 2 shown]
	v_pk_add_f32 v[34:35], v[20:21], v[80:81]
	v_mov_b32_e32 v85, v83
	v_pk_add_f32 v[34:35], v[74:75], v[34:35]
	v_mov_b32_e32 v98, v91
	;; [unrolled: 2-line block ×4, first 2 shown]
	v_mov_b32_e32 v91, v92
	v_mov_b32_e32 v92, v95
	v_mov_b32_e32 v93, v94
	v_mov_b32_e32 v94, v97
	v_mov_b32_e32 v95, v96
	v_mov_b32_e32 v96, v28
	v_mov_b32_e32 v97, v88
	v_pk_mul_f32 v[86:87], v[76:77], s[34:35]
	v_pk_mul_f32 v[88:89], v[76:77], s[24:25]
	s_mov_b32 s19, s24
	v_pk_mul_f32 v[100:101], v[76:77], s[22:23]
	v_pk_mul_f32 v[76:77], v[76:77], s[20:21]
	s_mov_b32 s9, s20
	v_pk_add_f32 v[34:35], v[84:85], v[34:35]
	ds_write2_b64 v65, v[32:33], v[34:35] offset1:13
	v_pk_fma_f32 v[32:33], v[28:29], s[8:9], v[76:77] neg_lo:[1,0,0] neg_hi:[1,0,0]
	v_pk_fma_f32 v[34:35], v[96:97], s[8:9], v[76:77]
	v_pk_mul_f32 v[40:41], v[98:99], s[18:19] op_sel_hi:[1,0]
	v_mov_b32_e32 v33, v35
	v_pk_fma_f32 v[42:43], v[26:27], s[24:25], v[40:41] op_sel_hi:[1,0,1] neg_lo:[0,0,1] neg_hi:[0,0,1]
	v_pk_fma_f32 v[40:41], v[26:27], s[24:25], v[40:41] op_sel_hi:[1,0,1]
	v_pk_add_f32 v[32:33], v[20:21], v[32:33]
	v_mov_b32_e32 v44, v42
	v_mov_b32_e32 v45, v41
	s_mov_b32 s36, 0x3e903f40
	v_pk_add_f32 v[32:33], v[44:45], v[32:33]
	v_pk_mul_f32 v[44:45], v[90:91], s[36:37] op_sel_hi:[1,0]
	s_mov_b32 s38, 0x3f7d64f0
	v_pk_fma_f32 v[46:47], v[24:25], s[34:35], v[44:45] op_sel_hi:[1,0,1] neg_lo:[0,0,1] neg_hi:[0,0,1]
	v_pk_fma_f32 v[44:45], v[24:25], s[34:35], v[44:45] op_sel_hi:[1,0,1]
	v_mov_b32_e32 v48, v46
	v_mov_b32_e32 v49, v45
	v_pk_add_f32 v[32:33], v[48:49], v[32:33]
	v_pk_mul_f32 v[48:49], v[92:93], s[38:39] op_sel_hi:[1,0]
	s_mov_b32 s40, 0x3f0a6770
	v_pk_fma_f32 v[50:51], v[22:23], s[22:23], v[48:49] op_sel_hi:[1,0,1] neg_lo:[0,0,1] neg_hi:[0,0,1]
	v_pk_fma_f32 v[48:49], v[22:23], s[22:23], v[48:49] op_sel_hi:[1,0,1]
	v_mov_b32_e32 v52, v50
	v_mov_b32_e32 v53, v49
	;; [unrolled: 7-line block ×3, first 2 shown]
	v_pk_add_f32 v[32:33], v[56:57], v[32:33]
	v_pk_fma_f32 v[56:57], v[28:29], s[10:11], v[100:101] neg_lo:[1,0,0] neg_hi:[1,0,0]
	v_pk_fma_f32 v[58:59], v[96:97], s[10:11], v[100:101]
	v_pk_mul_f32 v[60:61], v[98:99], s[36:37] op_sel_hi:[1,0]
	v_mov_b32_e32 v57, v59
	v_pk_fma_f32 v[62:63], v[26:27], s[34:35], v[60:61] op_sel_hi:[1,0,1] neg_lo:[0,0,1] neg_hi:[0,0,1]
	v_pk_fma_f32 v[60:61], v[26:27], s[34:35], v[60:61] op_sel_hi:[1,0,1]
	v_pk_add_f32 v[56:57], v[20:21], v[56:57]
	v_mov_b32_e32 v68, v62
	v_mov_b32_e32 v69, v61
	s_mov_b32 s36, 0x3f68dda4
	v_pk_add_f32 v[56:57], v[68:69], v[56:57]
	v_pk_mul_f32 v[68:69], v[90:91], s[36:37] op_sel_hi:[1,0]
	s_mov_b32 s31, s34
	v_pk_fma_f32 v[72:73], v[24:25], s[20:21], v[68:69] op_sel_hi:[1,0,1] neg_lo:[0,0,1] neg_hi:[0,0,1]
	v_pk_fma_f32 v[68:69], v[24:25], s[20:21], v[68:69] op_sel_hi:[1,0,1]
	v_mov_b32_e32 v74, v72
	v_mov_b32_e32 v75, v69
	v_pk_add_f32 v[56:57], v[74:75], v[56:57]
	v_pk_mul_f32 v[74:75], v[92:93], s[26:27] op_sel_hi:[1,0]
	v_mov_b32_e32 v61, v63
	v_pk_fma_f32 v[78:79], v[22:23], s[16:17], v[74:75] op_sel_hi:[1,0,1] neg_lo:[0,0,1] neg_hi:[0,0,1]
	v_pk_fma_f32 v[74:75], v[22:23], s[16:17], v[74:75] op_sel_hi:[1,0,1]
	v_mov_b32_e32 v80, v78
	v_mov_b32_e32 v81, v75
	v_pk_add_f32 v[56:57], v[80:81], v[56:57]
	v_pk_mul_f32 v[80:81], v[94:95], s[18:19] op_sel_hi:[1,0]
	v_mov_b32_e32 v41, v43
	v_pk_fma_f32 v[82:83], v[30:31], s[24:25], v[80:81] op_sel_hi:[1,0,1] neg_lo:[0,0,1] neg_hi:[0,0,1]
	v_pk_fma_f32 v[80:81], v[30:31], s[24:25], v[80:81] op_sel_hi:[1,0,1]
	v_mov_b32_e32 v84, v82
	v_mov_b32_e32 v85, v81
	v_pk_add_f32 v[56:57], v[84:85], v[56:57]
	ds_write2_b64 v65, v[32:33], v[56:57] offset0:26 offset1:39
	v_pk_fma_f32 v[32:33], v[28:29], s[18:19], v[88:89] neg_lo:[1,0,0] neg_hi:[1,0,0]
	v_pk_fma_f32 v[56:57], v[96:97], s[18:19], v[88:89]
	v_pk_mul_f32 v[84:85], v[98:99], s[38:39] op_sel_hi:[1,0]
	v_mov_b32_e32 v33, v57
	v_pk_fma_f32 v[102:103], v[26:27], s[22:23], v[84:85] op_sel_hi:[1,0,1] neg_lo:[0,0,1] neg_hi:[0,0,1]
	v_pk_fma_f32 v[84:85], v[26:27], s[22:23], v[84:85] op_sel_hi:[1,0,1]
	v_pk_add_f32 v[32:33], v[20:21], v[32:33]
	v_mov_b32_e32 v104, v102
	v_mov_b32_e32 v105, v85
	v_pk_add_f32 v[32:33], v[104:105], v[32:33]
	v_pk_mul_f32 v[104:105], v[90:91], s[26:27] op_sel_hi:[1,0]
	v_pk_mul_f32 v[98:99], v[98:99], s[40:41] op_sel_hi:[1,0]
	v_pk_fma_f32 v[106:107], v[24:25], s[16:17], v[104:105] op_sel_hi:[1,0,1] neg_lo:[0,0,1] neg_hi:[0,0,1]
	v_pk_fma_f32 v[104:105], v[24:25], s[16:17], v[104:105] op_sel_hi:[1,0,1]
	v_mov_b32_e32 v108, v106
	v_mov_b32_e32 v109, v105
	v_pk_add_f32 v[32:33], v[108:109], v[32:33]
	v_pk_mul_f32 v[108:109], v[92:93], s[30:31] op_sel_hi:[1,0]
	v_pk_fma_f32 v[28:29], v[28:29], s[30:31], v[86:87] neg_lo:[1,0,0] neg_hi:[1,0,0]
	v_pk_fma_f32 v[110:111], v[22:23], s[34:35], v[108:109] op_sel_hi:[1,0,1] neg_lo:[0,0,1] neg_hi:[0,0,1]
	v_pk_fma_f32 v[108:109], v[22:23], s[34:35], v[108:109] op_sel_hi:[1,0,1]
	v_mov_b32_e32 v112, v110
	v_mov_b32_e32 v113, v109
	v_pk_add_f32 v[32:33], v[112:113], v[32:33]
	v_pk_mul_f32 v[112:113], v[94:95], s[36:37] op_sel_hi:[1,0]
	v_pk_fma_f32 v[118:119], v[26:27], s[16:17], v[98:99] op_sel_hi:[1,0,1] neg_lo:[0,0,1] neg_hi:[0,0,1]
	v_pk_fma_f32 v[114:115], v[30:31], s[20:21], v[112:113] op_sel_hi:[1,0,1] neg_lo:[0,0,1] neg_hi:[0,0,1]
	v_pk_fma_f32 v[112:113], v[30:31], s[20:21], v[112:113] op_sel_hi:[1,0,1]
	v_mov_b32_e32 v116, v114
	v_mov_b32_e32 v117, v113
	v_pk_add_f32 v[32:33], v[116:117], v[32:33]
	v_pk_fma_f32 v[116:117], v[96:97], s[30:31], v[86:87]
	v_pk_fma_f32 v[26:27], v[26:27], s[16:17], v[98:99] op_sel_hi:[1,0,1]
	v_mov_b32_e32 v29, v117
	v_pk_mul_f32 v[90:91], v[90:91], s[18:19] op_sel_hi:[1,0]
	v_pk_add_f32 v[28:29], v[20:21], v[28:29]
	v_mov_b32_e32 v98, v118
	v_mov_b32_e32 v99, v27
	v_pk_add_f32 v[28:29], v[98:99], v[28:29]
	v_pk_fma_f32 v[98:99], v[24:25], s[24:25], v[90:91] op_sel_hi:[1,0,1] neg_lo:[0,0,1] neg_hi:[0,0,1]
	v_pk_fma_f32 v[24:25], v[24:25], s[24:25], v[90:91] op_sel_hi:[1,0,1]
	v_pk_mul_f32 v[92:93], v[92:93], s[36:37] op_sel_hi:[1,0]
	v_mov_b32_e32 v90, v98
	v_mov_b32_e32 v91, v25
	v_pk_add_f32 v[28:29], v[90:91], v[28:29]
	v_pk_fma_f32 v[90:91], v[22:23], s[20:21], v[92:93] op_sel_hi:[1,0,1] neg_lo:[0,0,1] neg_hi:[0,0,1]
	v_pk_fma_f32 v[22:23], v[22:23], s[20:21], v[92:93] op_sel_hi:[1,0,1]
	v_pk_mul_f32 v[94:95], v[94:95], s[10:11] op_sel_hi:[1,0]
	v_mov_b32_e32 v92, v90
	v_mov_b32_e32 v93, v23
	v_pk_add_f32 v[28:29], v[92:93], v[28:29]
	v_pk_fma_f32 v[92:93], v[30:31], s[22:23], v[94:95] op_sel_hi:[1,0,1] neg_lo:[0,0,1] neg_hi:[0,0,1]
	v_pk_fma_f32 v[30:31], v[30:31], s[22:23], v[94:95] op_sel_hi:[1,0,1]
	v_mov_b32_e32 v94, v92
	v_mov_b32_e32 v95, v31
	v_pk_add_f32 v[28:29], v[94:95], v[28:29]
	ds_write2_b64 v65, v[32:33], v[28:29] offset0:52 offset1:65
	v_pk_fma_f32 v[28:29], v[96:97], s[30:31], v[86:87] neg_lo:[0,0,1] neg_hi:[0,0,1]
	v_mov_b32_e32 v27, v119
	v_mov_b32_e32 v117, v29
	v_pk_add_f32 v[28:29], v[20:21], v[116:117]
	v_mov_b32_e32 v25, v99
	v_pk_add_f32 v[26:27], v[26:27], v[28:29]
	;; [unrolled: 2-line block ×4, first 2 shown]
	v_pk_fma_f32 v[24:25], v[96:97], s[18:19], v[88:89] neg_lo:[0,0,1] neg_hi:[0,0,1]
	v_mov_b32_e32 v105, v107
	v_mov_b32_e32 v57, v25
	v_pk_add_f32 v[24:25], v[20:21], v[56:57]
	v_mov_b32_e32 v109, v111
	v_pk_add_f32 v[24:25], v[84:85], v[24:25]
	;; [unrolled: 2-line block ×4, first 2 shown]
	v_pk_add_f32 v[22:23], v[30:31], v[22:23]
	v_pk_add_f32 v[24:25], v[112:113], v[24:25]
	ds_write2_b64 v65, v[22:23], v[24:25] offset0:78 offset1:91
	v_pk_fma_f32 v[22:23], v[96:97], s[10:11], v[100:101] neg_lo:[0,0,1] neg_hi:[0,0,1]
	v_pk_fma_f32 v[24:25], v[96:97], s[8:9], v[76:77] neg_lo:[0,0,1] neg_hi:[0,0,1]
	v_mov_b32_e32 v59, v23
	v_mov_b32_e32 v35, v25
	v_pk_add_f32 v[22:23], v[20:21], v[58:59]
	v_pk_add_f32 v[20:21], v[20:21], v[34:35]
	;; [unrolled: 1-line block ×3, first 2 shown]
	v_mov_b32_e32 v69, v73
	v_pk_add_f32 v[20:21], v[40:41], v[20:21]
	v_mov_b32_e32 v45, v47
	v_pk_add_f32 v[22:23], v[68:69], v[22:23]
	;; [unrolled: 2-line block ×6, first 2 shown]
	v_pk_add_f32 v[20:21], v[52:53], v[20:21]
	ds_write2_b64 v65, v[22:23], v[20:21] offset0:104 offset1:117
	ds_write_b64 v65, v[36:37] offset:1040
.LBB0_11:
	s_or_b64 exec, exec, s[28:29]
	s_load_dwordx4 s[8:11], s[0:1], 0x0
	s_movk_i32 s0, 0x48
	v_mov_b64_e32 v[20:21], s[6:7]
	v_mad_u64_u32 v[40:41], s[0:1], v67, s0, v[20:21]
	s_waitcnt lgkmcnt(0)
	s_barrier
	global_load_dwordx4 v[28:31], v[40:41], off offset:1056
	global_load_dwordx4 v[24:27], v[40:41], off offset:1072
	;; [unrolled: 1-line block ×3, first 2 shown]
	global_load_dwordx2 v[68:69], v[40:41], off offset:1104
	global_load_dwordx4 v[32:35], v[40:41], off offset:1040
	v_add_u32_e32 v43, 0x2200, v64
	v_add_u32_e32 v41, 0x1000, v64
	;; [unrolled: 1-line block ×4, first 2 shown]
	ds_read2_b64 v[44:47], v64 offset1:143
	ds_read2_b64 v[48:51], v41 offset0:60 offset1:203
	ds_read2_b64 v[52:55], v40 offset0:90 offset1:233
	ds_read2_b64 v[56:59], v43 offset0:56 offset1:199
	ds_read2_b64 v[60:63], v42 offset0:30 offset1:173
	s_mov_b32 s0, 0x3f737871
	s_mov_b32 s1, 0xbf737871
	s_waitcnt lgkmcnt(3)
	v_mov_b32_e32 v72, v49
	s_waitcnt lgkmcnt(2)
	v_mov_b32_e32 v74, v53
	s_mov_b32 s6, 0x3f167918
	s_mov_b32 s7, 0xbf167918
	s_mov_b32 s16, 0x3e9e377a
	s_mov_b32 s18, 0x3f4f1bbd
	s_waitcnt vmcnt(4)
	v_pk_mul_f32 v[76:77], v[48:49], v[30:31]
	v_mov_b32_e32 v78, v31
	s_waitcnt vmcnt(3)
	v_pk_mul_f32 v[80:81], v[52:53], v[26:27]
	v_mov_b32_e32 v82, v27
	s_waitcnt vmcnt(2)
	v_mov_b32_e32 v84, v23
	s_waitcnt vmcnt(1) lgkmcnt(1)
	v_pk_mul_f32 v[86:87], v[58:59], v[68:69] op_sel:[0,1]
	s_waitcnt vmcnt(0)
	v_mov_b32_e32 v88, v35
	v_pk_mul_f32 v[90:91], v[46:47], v[32:33] op_sel_hi:[1,0]
	v_mov_b32_e32 v92, v33
	s_waitcnt lgkmcnt(0)
	v_pk_mul_f32 v[94:95], v[62:63], v[28:29] op_sel_hi:[1,0]
	v_mov_b32_e32 v96, v29
	v_pk_mul_f32 v[98:99], v[50:51], v[24:25] op_sel:[0,1]
	v_pk_mul_f32 v[100:101], v[54:55], v[20:21] op_sel:[0,1]
	v_pk_mul_f32 v[48:49], v[48:49], v[78:79]
	v_mov_b32_e32 v78, v76
	v_mov_b32_e32 v79, v80
	v_mov_b32_e32 v80, v77
	v_pk_mul_f32 v[52:53], v[52:53], v[82:83]
	v_pk_mul_f32 v[76:77], v[56:57], v[84:85] op_sel_hi:[1,0]
	v_pk_fma_f32 v[82:83], v[58:59], v[68:69], v[86:87] op_sel:[0,0,1] op_sel_hi:[1,1,0] neg_lo:[0,0,1] neg_hi:[0,0,1]
	v_pk_fma_f32 v[58:59], v[58:59], v[68:69], v[86:87] op_sel:[0,0,1] op_sel_hi:[1,0,0]
	v_pk_mul_f32 v[84:85], v[60:61], v[88:89] op_sel_hi:[1,0]
	v_pk_fma_f32 v[86:87], v[46:47], v[92:93], v[90:91] op_sel:[0,0,1] op_sel_hi:[1,1,0]
	v_pk_fma_f32 v[46:47], v[46:47], v[32:33], v[90:91] op_sel:[0,1,1] op_sel_hi:[1,1,0] neg_lo:[1,0,0] neg_hi:[1,0,0]
	v_pk_fma_f32 v[88:89], v[62:63], v[96:97], v[94:95] op_sel:[0,0,1] op_sel_hi:[1,1,0]
	v_pk_fma_f32 v[62:63], v[62:63], v[28:29], v[94:95] op_sel:[0,1,1] op_sel_hi:[1,1,0] neg_lo:[1,0,0] neg_hi:[1,0,0]
	v_pk_fma_f32 v[90:91], v[50:51], v[24:25], v[98:99] op_sel:[0,0,1] op_sel_hi:[1,1,0] neg_lo:[0,0,1] neg_hi:[0,0,1]
	v_pk_fma_f32 v[50:51], v[50:51], v[24:25], v[98:99] op_sel:[0,0,1] op_sel_hi:[1,0,0]
	v_pk_fma_f32 v[92:93], v[54:55], v[20:21], v[100:101] op_sel:[0,0,1] op_sel_hi:[1,1,0] neg_lo:[0,0,1] neg_hi:[0,0,1]
	v_pk_fma_f32 v[54:55], v[54:55], v[20:21], v[100:101] op_sel:[0,0,1] op_sel_hi:[1,0,0]
	v_mov_b32_e32 v83, v59
	v_mov_b32_e32 v58, v59
	;; [unrolled: 1-line block ×6, first 2 shown]
	v_pk_fma_f32 v[48:49], v[72:73], v[30:31], v[48:49]
	v_pk_add_f32 v[72:73], v[78:79], v[80:81] neg_lo:[0,1] neg_hi:[0,1]
	v_mov_b32_e32 v87, v47
	v_pk_add_f32 v[58:59], v[88:89], v[58:59]
	v_pk_add_f32 v[96:97], v[90:91], v[92:93]
	v_pk_fma_f32 v[52:53], v[74:75], v[26:27], v[52:53]
	v_pk_fma_f32 v[74:75], v[56:57], v[22:23], v[76:77] op_sel:[0,0,1] op_sel_hi:[1,1,0] neg_lo:[0,0,1] neg_hi:[0,0,1]
	v_pk_fma_f32 v[56:57], v[56:57], v[22:23], v[76:77] op_sel:[0,0,1] op_sel_hi:[1,0,0]
	v_pk_fma_f32 v[76:77], v[60:61], v[34:35], v[84:85] op_sel:[0,0,1] op_sel_hi:[1,1,0] neg_lo:[0,0,1] neg_hi:[0,0,1]
	v_pk_fma_f32 v[60:61], v[60:61], v[34:35], v[84:85] op_sel:[0,0,1] op_sel_hi:[1,0,0]
	v_mov_b32_e32 v46, v63
	v_mov_b32_e32 v47, v88
	;; [unrolled: 1-line block ×5, first 2 shown]
	v_pk_add_f32 v[78:79], v[90:91], v[92:93] neg_lo:[0,1] neg_hi:[0,1]
	v_pk_fma_f32 v[58:59], v[58:59], 0.5, v[86:87] op_sel_hi:[1,0,1] neg_lo:[1,0,0] neg_hi:[1,0,0]
	v_pk_mul_f32 v[96:97], v[96:97], 0.5 op_sel_hi:[1,0]
	v_pk_add_f32 v[62:63], v[48:49], v[52:53]
	v_mov_b32_e32 v77, v61
	v_pk_add_f32 v[60:61], v[86:87], v[88:89]
	v_pk_add_f32 v[50:51], v[88:89], v[50:51] neg_lo:[0,1] neg_hi:[0,1]
	v_pk_add_f32 v[80:81], v[46:47], v[82:83] neg_lo:[0,1] neg_hi:[0,1]
	v_pk_add_f32 v[54:55], v[72:73], v[54:55]
	v_pk_fma_f32 v[88:89], v[78:79], s[0:1], v[58:59] op_sel_hi:[1,0,1] neg_lo:[1,0,0] neg_hi:[1,0,0]
	v_pk_add_f32 v[86:87], v[86:87], v[96:97] op_sel:[0,1] op_sel_hi:[1,0] neg_lo:[0,1] neg_hi:[0,1]
	v_pk_fma_f32 v[58:59], v[78:79], s[0:1], v[58:59] op_sel_hi:[1,0,1]
	v_mov_b32_e32 v75, v57
	v_mov_b32_e32 v56, v72
	;; [unrolled: 1-line block ×3, first 2 shown]
	v_pk_add_f32 v[60:61], v[60:61], v[90:91] op_sel:[1,0] op_sel_hi:[0,1]
	v_pk_fma_f32 v[96:97], v[80:81], s[0:1], v[86:87] op_sel_hi:[1,0,1]
	v_pk_fma_f32 v[86:87], v[80:81], s[0:1], v[86:87] op_sel_hi:[1,0,1] neg_lo:[1,0,0] neg_hi:[1,0,0]
	v_pk_fma_f32 v[58:59], v[80:81], s[6:7], v[58:59] op_sel_hi:[1,0,1] neg_lo:[1,0,0] neg_hi:[1,0,0]
	v_pk_fma_f32 v[80:81], v[80:81], s[6:7], v[88:89] op_sel_hi:[1,0,1]
	v_pk_add_f32 v[88:89], v[44:45], v[76:77]
	v_mov_b32_e32 v55, v62
	v_pk_add_f32 v[84:85], v[76:77], v[74:75]
	v_pk_add_f32 v[60:61], v[60:61], v[92:93]
	v_pk_add_f32 v[46:47], v[90:91], v[46:47] neg_lo:[0,1] neg_hi:[0,1]
	v_pk_fma_f32 v[54:55], v[54:55], 0.5, v[44:45] op_sel_hi:[1,0,1] neg_lo:[1,0,0] neg_hi:[1,0,0]
	v_mov_b32_e32 v49, v72
	v_mov_b32_e32 v53, v73
	v_pk_add_f32 v[62:63], v[76:77], v[56:57] neg_lo:[0,1] neg_hi:[0,1]
	v_pk_add_f32 v[90:91], v[56:57], v[76:77] neg_lo:[0,1] neg_hi:[0,1]
	;; [unrolled: 1-line block ×3, first 2 shown]
	v_pk_add_f32 v[56:57], v[88:89], v[56:57]
	v_mov_b32_e32 v72, v73
	v_mov_b32_e32 v73, v52
	v_pk_add_f32 v[60:61], v[60:61], v[82:83]
	v_pk_add_f32 v[94:95], v[82:83], v[92:93] neg_lo:[0,1] neg_hi:[0,1]
	v_pk_add_f32 v[82:83], v[92:93], v[82:83] neg_lo:[0,1] neg_hi:[0,1]
	;; [unrolled: 1-line block ×3, first 2 shown]
	v_pk_fma_f32 v[92:93], v[76:77], s[0:1], v[54:55] op_sel:[1,0,0] op_sel_hi:[0,0,1]
	v_pk_add_f32 v[52:53], v[56:57], v[72:73]
	v_pk_fma_f32 v[54:55], v[76:77], s[0:1], v[54:55] op_sel:[1,0,0] op_sel_hi:[0,0,1] neg_lo:[1,0,0] neg_hi:[1,0,0]
	v_pk_add_f32 v[56:57], v[74:75], v[72:73] neg_lo:[0,1] neg_hi:[0,1]
	v_pk_fma_f32 v[44:45], v[84:85], 0.5, v[44:45] op_sel_hi:[1,0,1] neg_lo:[1,0,0] neg_hi:[1,0,0]
	v_pk_fma_f32 v[54:55], v[48:49], s[6:7], v[54:55] op_sel_hi:[1,0,1] neg_lo:[1,0,0] neg_hi:[1,0,0]
	v_pk_add_f32 v[56:57], v[62:63], v[56:57]
	v_pk_fma_f32 v[62:63], v[48:49], s[6:7], v[92:93] op_sel_hi:[1,0,1]
	v_pk_fma_f32 v[84:85], v[48:49], s[0:1], v[44:45] op_sel_hi:[1,0,1] neg_lo:[1,0,0] neg_hi:[1,0,0]
	v_mov_b32_e32 v88, v62
	v_mov_b32_e32 v89, v55
	;; [unrolled: 1-line block ×3, first 2 shown]
	v_pk_fma_f32 v[44:45], v[48:49], s[0:1], v[44:45] op_sel_hi:[1,0,1]
	v_pk_fma_f32 v[88:89], v[56:57], s[16:17], v[88:89] op_sel_hi:[1,0,1]
	;; [unrolled: 1-line block ×3, first 2 shown]
	v_pk_fma_f32 v[44:45], v[76:77], s[6:7], v[44:45] op_sel:[1,0,0] op_sel_hi:[0,0,1] neg_lo:[1,0,0] neg_hi:[1,0,0]
	v_pk_fma_f32 v[48:49], v[76:77], s[6:7], v[84:85] op_sel:[1,0,0] op_sel_hi:[0,0,1]
	v_pk_add_f32 v[56:57], v[72:73], v[74:75] neg_lo:[0,1] neg_hi:[0,1]
	v_mov_b32_e32 v54, v48
	v_mov_b32_e32 v55, v45
	v_pk_add_f32 v[56:57], v[90:91], v[56:57]
	v_mov_b32_e32 v45, v49
	v_pk_fma_f32 v[54:55], v[56:57], s[16:17], v[54:55] op_sel_hi:[1,0,1]
	v_pk_fma_f32 v[72:73], v[56:57], s[16:17], v[44:45] op_sel_hi:[1,0,1]
	v_pk_add_f32 v[44:45], v[50:51], v[94:95] op_sel:[0,1] op_sel_hi:[1,0]
	v_pk_fma_f32 v[48:49], v[78:79], s[6:7], v[96:97] op_sel_hi:[1,0,1]
	v_pk_fma_f32 v[56:57], v[78:79], s[6:7], v[86:87] op_sel_hi:[1,0,1] neg_lo:[1,0,0] neg_hi:[1,0,0]
	v_pk_add_f32 v[52:53], v[52:53], v[74:75]
	v_pk_fma_f32 v[50:51], v[44:45], s[16:17], v[48:49] op_sel_hi:[1,0,1]
	v_pk_fma_f32 v[74:75], v[44:45], s[16:17], v[56:57] op_sel_hi:[1,0,1]
	v_pk_add_f32 v[46:47], v[46:47], v[82:83]
	v_mov_b32_e32 v49, v57
	v_mov_b32_e32 v50, v74
	;; [unrolled: 1-line block ×3, first 2 shown]
	v_pk_fma_f32 v[48:49], v[44:45], s[16:17], v[48:49] op_sel_hi:[1,0,1]
	v_pk_mul_f32 v[44:45], v[46:47], s[16:17] op_sel_hi:[1,0]
	v_mov_b32_e32 v59, v81
	v_pk_mul_f32 v[56:57], v[50:51], s[18:19] op_sel_hi:[1,0]
	v_pk_add_f32 v[46:47], v[44:45], v[58:59] op_sel:[1,0] op_sel_hi:[0,1]
	v_pk_fma_f32 v[74:75], v[74:75], s[6:7], v[56:57] op_sel:[0,0,1] op_sel_hi:[1,0,0]
	v_pk_fma_f32 v[50:51], v[50:51], s[6:7], v[56:57] op_sel:[0,0,1] op_sel_hi:[1,0,0] neg_lo:[1,0,0] neg_hi:[1,0,0]
	v_mov_b32_e32 v82, v80
	v_mov_b32_e32 v75, v51
	v_pk_mul_f32 v[50:51], v[46:47], s[0:1] op_sel_hi:[1,0]
	v_pk_add_f32 v[44:45], v[44:45], v[82:83] op_sel:[1,0] op_sel_hi:[0,1]
	v_pk_fma_f32 v[56:57], v[46:47], s[16:17], v[50:51] op_sel:[0,0,1] op_sel_hi:[1,0,0]
	v_pk_fma_f32 v[46:47], v[46:47], s[16:17], v[50:51] op_sel:[0,0,1] op_sel_hi:[1,0,0] neg_lo:[0,0,1] neg_hi:[0,0,1]
	v_pk_mul_f32 v[50:51], v[48:49], s[18:19] op_sel_hi:[1,0]
	v_mov_b32_e32 v77, v46
	v_pk_mul_f32 v[46:47], v[44:45], s[16:17] op_sel_hi:[1,0]
	v_mov_b32_e32 v76, v57
	v_pk_fma_f32 v[78:79], v[44:45], s[0:1], v[46:47] op_sel:[0,0,1] op_sel_hi:[1,1,0] neg_lo:[0,0,1] neg_hi:[0,0,1]
	v_pk_fma_f32 v[80:81], v[48:49], s[6:7], v[50:51] op_sel:[0,0,1] op_sel_hi:[1,1,0] neg_lo:[0,0,1] neg_hi:[0,0,1]
	v_pk_add_f32 v[44:45], v[52:53], v[60:61]
	v_pk_add_f32 v[46:47], v[88:89], v[74:75]
	;; [unrolled: 1-line block ×5, first 2 shown]
	v_pk_add_f32 v[50:51], v[52:53], v[60:61] neg_lo:[0,1] neg_hi:[0,1]
	v_pk_add_f32 v[52:53], v[88:89], v[74:75] neg_lo:[0,1] neg_hi:[0,1]
	;; [unrolled: 1-line block ×5, first 2 shown]
	ds_write2_b64 v64, v[44:45], v[46:47] offset1:143
	ds_write2_b64 v42, v[56:57], v[58:59] offset0:30 offset1:173
	ds_write2_b64 v41, v[48:49], v[50:51] offset0:60 offset1:203
	;; [unrolled: 1-line block ×4, first 2 shown]
	s_waitcnt lgkmcnt(0)
	s_barrier
	s_and_saveexec_b64 s[0:1], s[4:5]
	s_cbranch_execz .LBB0_13
; %bb.12:
	v_mov_b32_e32 v65, 0
	v_lshl_add_u64 v[76:77], s[12:13], 0, v[64:65]
	v_add_co_u32_e32 v74, vcc, 0x2000, v76
	ds_read_b64 v[72:73], v64
	s_nop 0
	v_addc_co_u32_e32 v75, vcc, 0, v77, vcc
	global_load_dwordx2 v[74:75], v[74:75], off offset:3248
	s_mov_b64 s[6:7], 0x2cb0
	v_lshl_add_u64 v[78:79], v[76:77], 0, s[6:7]
	s_movk_i32 s6, 0x3000
	s_waitcnt vmcnt(0) lgkmcnt(0)
	v_mul_f32_e32 v43, v73, v75
	v_mul_f32_e32 v81, v72, v75
	v_fma_f32 v80, v72, v74, -v43
	v_fmac_f32_e32 v81, v73, v74
	ds_write_b64 v64, v[80:81]
	global_load_dwordx2 v[80:81], v[78:79], off offset:880
	ds_read2_b64 v[72:75], v64 offset0:110 offset1:220
	s_waitcnt vmcnt(0) lgkmcnt(0)
	v_mul_f32_e32 v43, v73, v81
	v_mul_f32_e32 v83, v72, v81
	v_fma_f32 v82, v72, v80, -v43
	v_fmac_f32_e32 v83, v73, v80
	global_load_dwordx2 v[72:73], v[78:79], off offset:1760
	s_waitcnt vmcnt(0)
	v_mul_f32_e32 v43, v75, v73
	v_mul_f32_e32 v81, v74, v73
	v_fma_f32 v80, v74, v72, -v43
	v_fmac_f32_e32 v81, v75, v72
	ds_write2_b64 v64, v[82:83], v[80:81] offset0:110 offset1:220
	global_load_dwordx2 v[80:81], v[78:79], off offset:2640
	ds_read2_b64 v[72:75], v42 offset0:74 offset1:184
	s_waitcnt vmcnt(0) lgkmcnt(0)
	v_mul_f32_e32 v43, v73, v81
	v_mul_f32_e32 v83, v72, v81
	v_fma_f32 v82, v72, v80, -v43
	v_fmac_f32_e32 v83, v73, v80
	global_load_dwordx2 v[72:73], v[78:79], off offset:3520
	s_waitcnt vmcnt(0)
	v_mul_f32_e32 v43, v75, v73
	v_mul_f32_e32 v79, v74, v73
	v_fma_f32 v78, v74, v72, -v43
	v_fmac_f32_e32 v79, v75, v72
	ds_write2_b64 v42, v[82:83], v[78:79] offset0:74 offset1:184
	v_add_co_u32_e32 v42, vcc, s6, v76
	ds_read2_b64 v[72:75], v41 offset0:38 offset1:148
	s_nop 0
	v_addc_co_u32_e32 v43, vcc, 0, v77, vcc
	global_load_dwordx2 v[42:43], v[42:43], off offset:3552
	s_movk_i32 s6, 0x4000
	v_add_co_u32_e32 v80, vcc, s6, v76
	s_movk_i32 s6, 0x5000
	s_nop 0
	v_addc_co_u32_e32 v81, vcc, 0, v77, vcc
	s_waitcnt vmcnt(0) lgkmcnt(0)
	v_mul_f32_e32 v65, v73, v43
	v_mul_f32_e32 v79, v72, v43
	v_fma_f32 v78, v72, v42, -v65
	v_fmac_f32_e32 v79, v73, v42
	global_load_dwordx2 v[42:43], v[80:81], off offset:336
	s_waitcnt vmcnt(0)
	v_mul_f32_e32 v65, v75, v43
	v_mul_f32_e32 v73, v74, v43
	v_fma_f32 v72, v74, v42, -v65
	v_fmac_f32_e32 v73, v75, v42
	global_load_dwordx2 v[42:43], v[80:81], off offset:1216
	ds_write2_b64 v41, v[78:79], v[72:73] offset0:38 offset1:148
	ds_read2_b64 v[72:75], v40 offset0:2 offset1:112
	v_add_u32_e32 v65, 0x1c00, v64
	s_waitcnt vmcnt(0) lgkmcnt(0)
	v_mul_f32_e32 v41, v73, v43
	v_mul_f32_e32 v79, v72, v43
	v_fma_f32 v78, v72, v42, -v41
	v_fmac_f32_e32 v79, v73, v42
	global_load_dwordx2 v[42:43], v[80:81], off offset:2096
	s_waitcnt vmcnt(0)
	v_mul_f32_e32 v41, v75, v43
	v_mul_f32_e32 v73, v74, v43
	v_fma_f32 v72, v74, v42, -v41
	v_fmac_f32_e32 v73, v75, v42
	ds_write2_b64 v40, v[78:79], v[72:73] offset0:2 offset1:112
	global_load_dwordx2 v[72:73], v[80:81], off offset:2976
	ds_read2_b64 v[40:43], v65 offset0:94 offset1:204
	s_waitcnt vmcnt(0) lgkmcnt(0)
	v_mul_f32_e32 v74, v41, v73
	v_mul_f32_e32 v75, v40, v73
	v_fma_f32 v74, v40, v72, -v74
	v_fmac_f32_e32 v75, v41, v72
	global_load_dwordx2 v[40:41], v[80:81], off offset:3856
	s_waitcnt vmcnt(0)
	v_mul_f32_e32 v72, v43, v41
	v_mul_f32_e32 v73, v42, v41
	v_fma_f32 v72, v42, v40, -v72
	v_fmac_f32_e32 v73, v43, v40
	ds_write2_b64 v65, v[74:75], v[72:73] offset0:94 offset1:204
	v_add_co_u32_e32 v72, vcc, s6, v76
	v_add_u32_e32 v65, 0x2400, v64
	s_nop 0
	v_addc_co_u32_e32 v73, vcc, 0, v77, vcc
	global_load_dwordx2 v[74:75], v[72:73], off offset:640
	ds_read2_b64 v[40:43], v65 offset0:58 offset1:168
	s_waitcnt vmcnt(0) lgkmcnt(0)
	v_mul_f32_e32 v76, v41, v75
	v_mul_f32_e32 v77, v40, v75
	v_fma_f32 v76, v40, v74, -v76
	v_fmac_f32_e32 v77, v41, v74
	global_load_dwordx2 v[40:41], v[72:73], off offset:1520
	s_waitcnt vmcnt(0)
	v_mul_f32_e32 v72, v43, v41
	v_mul_f32_e32 v73, v42, v41
	v_fma_f32 v72, v42, v40, -v72
	v_fmac_f32_e32 v73, v43, v40
	ds_write2_b64 v65, v[76:77], v[72:73] offset0:58 offset1:168
.LBB0_13:
	s_or_b64 exec, exec, s[0:1]
	s_waitcnt lgkmcnt(0)
	s_barrier
	s_and_saveexec_b64 s[0:1], s[4:5]
	s_cbranch_execz .LBB0_15
; %bb.14:
	v_add_u32_e32 v36, 0x400, v64
	ds_read2_b64 v[56:59], v36 offset0:92 offset1:202
	v_add_u32_e32 v36, 0xc00, v64
	ds_read2_b64 v[48:51], v36 offset0:56 offset1:166
	;; [unrolled: 2-line block ×4, first 2 shown]
	v_add_u32_e32 v36, 0x2000, v64
	ds_read2_b64 v[44:47], v64 offset1:110
	ds_read2_b64 v[36:39], v36 offset0:76 offset1:186
	ds_read_b64 v[70:71], v64 offset:10560
.LBB0_15:
	s_or_b64 exec, exec, s[0:1]
	s_waitcnt lgkmcnt(2)
	v_pk_add_f32 v[40:41], v[46:47], v[44:45]
	s_mov_b32 s0, 0xbeedf032
	v_pk_add_f32 v[40:41], v[56:57], v[40:41]
	s_waitcnt lgkmcnt(0)
	v_pk_add_f32 v[118:119], v[46:47], v[70:71] neg_lo:[0,1] neg_hi:[0,1]
	v_pk_add_f32 v[40:41], v[58:59], v[40:41]
	v_pk_add_f32 v[84:85], v[46:47], v[70:71]
	;; [unrolled: 1-line block ×3, first 2 shown]
	s_mov_b32 s1, 0x3f62ad3f
	v_pk_add_f32 v[40:41], v[50:51], v[40:41]
	v_mov_b32_e32 v136, v84
	v_pk_add_f32 v[40:41], v[52:53], v[40:41]
	v_mov_b32_e32 v137, v118
	v_pk_add_f32 v[40:41], v[54:55], v[40:41]
	s_mov_b32 s6, s1
	v_pk_add_f32 v[40:41], v[60:61], v[40:41]
	s_mov_b32 s7, s0
	v_pk_add_f32 v[40:41], v[62:63], v[40:41]
	v_pk_add_f32 v[126:127], v[50:51], v[60:61] neg_lo:[0,1] neg_hi:[0,1]
	v_pk_add_f32 v[98:99], v[50:51], v[60:61]
	v_pk_mul_f32 v[60:61], v[136:137], s[6:7]
	s_mov_b32 s6, 0xbf52af12
	v_pk_add_f32 v[40:41], v[36:37], v[40:41]
	v_pk_add_f32 v[120:121], v[56:57], v[38:39] neg_lo:[0,1] neg_hi:[0,1]
	v_pk_add_f32 v[92:93], v[56:57], v[38:39]
	s_mov_b32 s7, 0x3f116cb1
	v_pk_add_f32 v[40:41], v[38:39], v[40:41]
	v_mov_b32_e32 v84, v119
	v_mov_b32_e32 v134, v92
	;; [unrolled: 1-line block ×3, first 2 shown]
	v_pk_add_f32 v[122:123], v[58:59], v[36:37] neg_lo:[0,1] neg_hi:[0,1]
	v_pk_add_f32 v[94:95], v[58:59], v[36:37]
	v_pk_add_f32 v[36:37], v[52:53], v[54:55] neg_lo:[0,1] neg_hi:[0,1]
	v_pk_add_f32 v[100:101], v[52:53], v[54:55]
	s_mov_b32 s40, s7
	s_mov_b32 s41, s6
	;; [unrolled: 1-line block ×3, first 2 shown]
	v_pk_add_f32 v[40:41], v[70:71], v[40:41]
	v_mov_b32_e32 v92, v121
	v_mov_b32_e32 v56, v100
	;; [unrolled: 1-line block ×4, first 2 shown]
	v_pk_fma_f32 v[58:59], v[84:85], s[0:1], v[60:61]
	v_pk_fma_f32 v[36:37], v[84:85], s[0:1], v[60:61] neg_lo:[0,0,1] neg_hi:[0,0,1]
	v_pk_mul_f32 v[70:71], v[134:135], s[40:41]
	s_mov_b32 s17, 0x3df6dbef
	v_mov_b32_e32 v132, v94
	v_mov_b32_e32 v133, v122
	v_pk_add_f32 v[124:125], v[48:49], v[62:63] neg_lo:[0,1] neg_hi:[0,1]
	v_pk_add_f32 v[96:97], v[48:49], v[62:63]
	v_mov_b32_e32 v36, v58
	v_pk_fma_f32 v[62:63], v[92:93], s[6:7], v[70:71]
	v_pk_fma_f32 v[38:39], v[92:93], s[6:7], v[70:71] neg_lo:[0,0,1] neg_hi:[0,0,1]
	s_mov_b32 s44, s17
	s_mov_b32 s45, s16
	;; [unrolled: 1-line block ×3, first 2 shown]
	v_mov_b32_e32 v94, v123
	v_pk_add_f32 v[36:37], v[44:45], v[36:37]
	v_mov_b32_e32 v38, v62
	v_pk_mul_f32 v[74:75], v[132:133], s[44:45]
	s_mov_b32 s19, 0xbeb58ec6
	v_mov_b32_e32 v130, v96
	v_mov_b32_e32 v131, v124
	v_pk_add_f32 v[36:37], v[38:39], v[36:37]
	v_pk_fma_f32 v[72:73], v[94:95], s[16:17], v[74:75]
	v_pk_fma_f32 v[38:39], v[94:95], s[16:17], v[74:75] neg_lo:[0,0,1] neg_hi:[0,0,1]
	s_mov_b32 s26, s19
	s_mov_b32 s27, s18
	;; [unrolled: 1-line block ×3, first 2 shown]
	v_mov_b32_e32 v96, v125
	v_mov_b32_e32 v38, v72
	v_pk_mul_f32 v[78:79], v[130:131], s[26:27]
	s_mov_b32 s21, 0xbf3f9e67
	v_mov_b32_e32 v128, v98
	v_mov_b32_e32 v129, v126
	v_pk_add_f32 v[36:37], v[38:39], v[36:37]
	v_pk_fma_f32 v[76:77], v[96:97], s[18:19], v[78:79]
	v_pk_fma_f32 v[38:39], v[96:97], s[18:19], v[78:79] neg_lo:[0,0,1] neg_hi:[0,0,1]
	s_mov_b32 s34, s21
	s_mov_b32 s35, s20
	;; [unrolled: 1-line block ×3, first 2 shown]
	v_mov_b32_e32 v98, v127
	v_mov_b32_e32 v38, v76
	v_pk_mul_f32 v[82:83], v[128:129], s[34:35]
	s_mov_b32 s23, 0xbf788fa5
	v_pk_add_f32 v[36:37], v[38:39], v[36:37]
	v_pk_fma_f32 v[80:81], v[98:99], s[20:21], v[82:83]
	v_pk_fma_f32 v[38:39], v[98:99], s[20:21], v[82:83] neg_lo:[0,0,1] neg_hi:[0,0,1]
	s_mov_b32 s38, s23
	s_mov_b32 s39, s22
	v_mov_b32_e32 v38, v80
	v_pk_mul_f32 v[88:89], v[56:57], s[38:39]
	v_pk_add_f32 v[36:37], v[38:39], v[36:37]
	v_pk_fma_f32 v[86:87], v[100:101], s[22:23], v[88:89]
	v_pk_fma_f32 v[38:39], v[100:101], s[22:23], v[88:89] neg_lo:[0,0,1] neg_hi:[0,0,1]
	v_pk_mul_f32 v[104:105], v[136:137], s[40:41]
	v_mov_b32_e32 v38, v86
	v_pk_add_f32 v[42:43], v[38:39], v[36:37]
	v_pk_fma_f32 v[102:103], v[84:85], s[6:7], v[104:105]
	v_pk_fma_f32 v[36:37], v[84:85], s[6:7], v[104:105] neg_lo:[0,0,1] neg_hi:[0,0,1]
	v_pk_mul_f32 v[108:109], v[134:135], s[26:27]
	v_mov_b32_e32 v36, v102
	v_pk_fma_f32 v[106:107], v[92:93], s[18:19], v[108:109]
	v_pk_fma_f32 v[38:39], v[92:93], s[18:19], v[108:109] neg_lo:[0,0,1] neg_hi:[0,0,1]
	v_pk_add_f32 v[36:37], v[44:45], v[36:37]
	v_mov_b32_e32 v38, v106
	v_pk_mul_f32 v[112:113], v[132:133], s[38:39]
	s_mov_b32 s24, 0x3f29c268
	v_pk_add_f32 v[36:37], v[38:39], v[36:37]
	v_pk_fma_f32 v[110:111], v[94:95], s[22:23], v[112:113]
	v_pk_fma_f32 v[38:39], v[94:95], s[22:23], v[112:113] neg_lo:[0,0,1] neg_hi:[0,0,1]
	s_mov_b32 s46, s21
	s_mov_b32 s47, s24
	v_mov_b32_e32 v38, v110
	s_mov_b32 s25, s21
	v_pk_mul_f32 v[116:117], v[130:131], s[46:47]
	s_mov_b32 s28, 0x3f7e222b
	v_pk_add_f32 v[36:37], v[38:39], v[36:37]
	v_pk_fma_f32 v[114:115], v[96:97], s[24:25], v[116:117]
	v_pk_fma_f32 v[38:39], v[96:97], s[24:25], v[116:117] neg_lo:[0,0,1] neg_hi:[0,0,1]
	s_mov_b32 s36, s17
	s_mov_b32 s37, s28
	v_mov_b32_e32 v38, v114
	s_mov_b32 s29, s17
	v_pk_mul_f32 v[140:141], v[128:129], s[36:37]
	v_pk_add_f32 v[36:37], v[38:39], v[36:37]
	v_pk_fma_f32 v[138:139], v[98:99], s[28:29], v[140:141]
	v_pk_fma_f32 v[38:39], v[98:99], s[28:29], v[140:141] neg_lo:[0,0,1] neg_hi:[0,0,1]
	v_pk_mul_f32 v[50:51], v[134:135], s[38:39]
	v_mov_b32_e32 v38, v138
	v_pk_add_f32 v[36:37], v[38:39], v[36:37]
	v_pk_mul_f32 v[38:39], v[136:137], s[44:45]
	v_pk_fma_f32 v[52:53], v[120:121], s[22:23], v[50:51] op_sel:[1,0,0] neg_lo:[1,0,0] neg_hi:[1,0,0]
	v_pk_fma_f32 v[46:47], v[118:119], s[16:17], v[38:39] op_sel:[1,0,0] neg_lo:[1,0,0] neg_hi:[1,0,0]
	v_pk_fma_f32 v[48:49], v[84:85], s[16:17], v[38:39]
	v_pk_fma_f32 v[54:55], v[92:93], s[22:23], v[50:51]
	v_mov_b32_e32 v47, v49
	s_mov_b32 s48, 0x3f6f5d39
	v_pk_add_f32 v[46:47], v[44:45], v[46:47]
	v_mov_b32_e32 v53, v55
	s_mov_b32 s50, s19
	s_mov_b32 s51, s48
	v_pk_add_f32 v[46:47], v[52:53], v[46:47]
	s_mov_b32 s49, s19
	v_pk_mul_f32 v[52:53], v[132:133], s[50:51]
	s_mov_b32 s30, 0x3eedf032
	v_pk_fma_f32 v[90:91], v[122:123], s[48:49], v[52:53] op_sel:[1,0,0] neg_lo:[1,0,0] neg_hi:[1,0,0]
	v_pk_fma_f32 v[150:151], v[94:95], s[48:49], v[52:53]
	s_mov_b32 s42, s1
	s_mov_b32 s43, s30
	v_mov_b32_e32 v91, v151
	s_mov_b32 s31, s1
	v_pk_add_f32 v[46:47], v[90:91], v[46:47]
	v_pk_mul_f32 v[90:91], v[130:131], s[42:43]
	v_pk_fma_f32 v[38:39], v[84:85], s[16:17], v[38:39] neg_lo:[0,0,1] neg_hi:[0,0,1]
	v_pk_fma_f32 v[152:153], v[124:125], s[30:31], v[90:91] op_sel:[1,0,0] neg_lo:[1,0,0] neg_hi:[1,0,0]
	v_pk_fma_f32 v[154:155], v[96:97], s[30:31], v[90:91]
	v_mov_b32_e32 v49, v39
	v_mov_b32_e32 v153, v155
	v_pk_add_f32 v[46:47], v[152:153], v[46:47]
	v_pk_mul_f32 v[152:153], v[128:129], s[40:41]
	v_pk_mul_f32 v[144:145], v[56:57], s[42:43]
	v_pk_fma_f32 v[156:157], v[126:127], s[6:7], v[152:153] op_sel:[1,0,0] neg_lo:[1,0,0] neg_hi:[1,0,0]
	v_pk_fma_f32 v[158:159], v[98:99], s[6:7], v[152:153]
	v_pk_add_f32 v[38:39], v[44:45], v[48:49]
	v_mov_b32_e32 v157, v159
	v_pk_fma_f32 v[48:49], v[92:93], s[22:23], v[50:51] neg_lo:[0,0,1] neg_hi:[0,0,1]
	v_pk_fma_f32 v[142:143], v[100:101], s[30:31], v[144:145]
	v_pk_add_f32 v[46:47], v[156:157], v[46:47]
	v_pk_fma_f32 v[156:157], v[100:101], s[30:31], v[144:145] neg_lo:[0,0,1] neg_hi:[0,0,1]
	v_mov_b32_e32 v55, v49
	v_pk_fma_f32 v[48:49], v[94:95], s[48:49], v[52:53] neg_lo:[0,0,1] neg_hi:[0,0,1]
	v_mov_b32_e32 v156, v142
	v_pk_add_f32 v[38:39], v[54:55], v[38:39]
	v_mov_b32_e32 v151, v49
	v_pk_fma_f32 v[48:49], v[96:97], s[30:31], v[90:91] neg_lo:[0,0,1] neg_hi:[0,0,1]
	v_pk_add_f32 v[36:37], v[156:157], v[36:37]
	v_pk_mul_f32 v[156:157], v[100:101], s[20:21]
	v_pk_add_f32 v[38:39], v[150:151], v[38:39]
	v_mov_b32_e32 v155, v49
	v_pk_fma_f32 v[48:49], v[98:99], s[6:7], v[152:153] neg_lo:[0,0,1] neg_hi:[0,0,1]
	v_pk_add_f32 v[38:39], v[154:155], v[38:39]
	v_mov_b32_e32 v159, v49
	v_pk_fma_f32 v[48:49], v[56:57], s[34:35], v[156:157]
	v_pk_fma_f32 v[50:51], v[56:57], s[34:35], v[156:157] neg_lo:[1,0,0] neg_hi:[1,0,0]
	v_pk_add_f32 v[38:39], v[158:159], v[38:39]
	v_mov_b32_e32 v50, v48
	v_pk_add_f32 v[38:39], v[50:51], v[38:39]
	v_pk_fma_f32 v[50:51], v[56:57], s[34:35], v[156:157] neg_lo:[0,0,1] neg_hi:[0,0,1]
	v_pk_mul_f32 v[52:53], v[134:135], s[46:47]
	v_mov_b32_e32 v51, v49
	v_pk_add_f32 v[90:91], v[50:51], v[46:47]
	v_pk_mul_f32 v[46:47], v[136:137], s[26:27]
	v_pk_fma_f32 v[54:55], v[120:121], s[24:25], v[52:53] op_sel:[1,0,0] neg_lo:[1,0,0] neg_hi:[1,0,0]
	v_pk_fma_f32 v[48:49], v[118:119], s[18:19], v[46:47] op_sel:[1,0,0] neg_lo:[1,0,0] neg_hi:[1,0,0]
	v_pk_fma_f32 v[50:51], v[84:85], s[18:19], v[46:47]
	v_pk_fma_f32 v[150:151], v[92:93], s[24:25], v[52:53]
	v_mov_b32_e32 v49, v51
	v_pk_add_f32 v[48:49], v[44:45], v[48:49]
	v_mov_b32_e32 v55, v151
	v_pk_add_f32 v[48:49], v[54:55], v[48:49]
	v_pk_mul_f32 v[54:55], v[132:133], s[42:43]
	s_mov_b32 s48, 0x3e750f2a
	v_pk_fma_f32 v[152:153], v[122:123], s[30:31], v[54:55] op_sel:[1,0,0] neg_lo:[1,0,0] neg_hi:[1,0,0]
	v_pk_fma_f32 v[154:155], v[94:95], s[30:31], v[54:55]
	v_pk_fma_f32 v[46:47], v[84:85], s[18:19], v[46:47] neg_lo:[0,0,1] neg_hi:[0,0,1]
	v_mov_b32_e32 v153, v155
	v_pk_add_f32 v[48:49], v[152:153], v[48:49]
	v_pk_mul_f32 v[152:153], v[130:131], s[44:45]
	s_mov_b32 s50, s23
	v_pk_fma_f32 v[156:157], v[124:125], s[16:17], v[152:153] op_sel:[1,0,0] neg_lo:[1,0,0] neg_hi:[1,0,0]
	v_pk_fma_f32 v[158:159], v[96:97], s[16:17], v[152:153]
	s_mov_b32 s51, s48
	v_mov_b32_e32 v157, v159
	v_mov_b32_e32 v51, v47
	v_pk_fma_f32 v[46:47], v[92:93], s[24:25], v[52:53] neg_lo:[0,0,1] neg_hi:[0,0,1]
	v_pk_fma_f32 v[52:53], v[94:95], s[30:31], v[54:55] neg_lo:[0,0,1] neg_hi:[0,0,1]
	v_pk_add_f32 v[48:49], v[156:157], v[48:49]
	s_mov_b32 s49, s23
	v_pk_mul_f32 v[156:157], v[128:129], s[50:51]
	s_mov_b32 s44, 0x3f52af12
	s_mov_b32 s45, s7
	v_mov_b32_e32 v155, v53
	v_pk_fma_f32 v[52:53], v[96:97], s[16:17], v[152:153] neg_lo:[0,0,1] neg_hi:[0,0,1]
	v_pk_fma_f32 v[160:161], v[126:127], s[48:49], v[156:157] op_sel:[1,0,0] neg_lo:[1,0,0] neg_hi:[1,0,0]
	v_pk_fma_f32 v[162:163], v[98:99], s[48:49], v[156:157]
	v_mov_b32_e32 v151, v47
	v_pk_mul_f32 v[46:47], v[100:101], s[44:45]
	s_mov_b32 s46, s7
	s_mov_b32 s47, s44
	v_pk_add_f32 v[50:51], v[44:45], v[50:51]
	v_mov_b32_e32 v159, v53
	v_pk_fma_f32 v[52:53], v[98:99], s[48:49], v[156:157] neg_lo:[0,0,1] neg_hi:[0,0,1]
	v_mov_b32_e32 v161, v163
	v_pk_add_f32 v[50:51], v[150:151], v[50:51]
	v_mov_b32_e32 v163, v53
	v_pk_fma_f32 v[52:53], v[56:57], s[46:47], v[46:47]
	v_pk_fma_f32 v[54:55], v[56:57], s[46:47], v[46:47] neg_lo:[1,0,0] neg_hi:[1,0,0]
	v_pk_fma_f32 v[150:151], v[56:57], s[46:47], v[46:47] neg_lo:[0,0,1] neg_hi:[0,0,1]
	v_pk_mul_f32 v[46:47], v[136:137], s[34:35]
	v_pk_add_f32 v[50:51], v[154:155], v[50:51]
	v_mov_b32_e32 v54, v52
	v_mov_b32_e32 v151, v53
	v_pk_fma_f32 v[52:53], v[118:119], s[20:21], v[46:47] op_sel:[1,0,0] neg_lo:[1,0,0] neg_hi:[1,0,0]
	v_pk_fma_f32 v[152:153], v[84:85], s[20:21], v[46:47]
	v_pk_mul_f32 v[154:155], v[134:135], s[36:37]
	v_pk_add_f32 v[50:51], v[158:159], v[50:51]
	v_mov_b32_e32 v53, v153
	v_pk_fma_f32 v[156:157], v[120:121], s[28:29], v[154:155] op_sel:[1,0,0] neg_lo:[1,0,0] neg_hi:[1,0,0]
	v_pk_fma_f32 v[158:159], v[92:93], s[28:29], v[154:155]
	v_pk_add_f32 v[52:53], v[44:45], v[52:53]
	v_mov_b32_e32 v157, v159
	v_pk_add_f32 v[52:53], v[156:157], v[52:53]
	v_pk_mul_f32 v[156:157], v[132:133], s[40:41]
	v_pk_add_f32 v[48:49], v[160:161], v[48:49]
	v_pk_add_f32 v[50:51], v[162:163], v[50:51]
	v_pk_fma_f32 v[160:161], v[122:123], s[6:7], v[156:157] op_sel:[1,0,0] neg_lo:[1,0,0] neg_hi:[1,0,0]
	v_pk_fma_f32 v[162:163], v[94:95], s[6:7], v[156:157]
	v_pk_fma_f32 v[46:47], v[84:85], s[20:21], v[46:47] neg_lo:[0,0,1] neg_hi:[0,0,1]
	v_mov_b32_e32 v161, v163
	v_pk_add_f32 v[52:53], v[160:161], v[52:53]
	v_pk_mul_f32 v[160:161], v[130:131], s[50:51]
	v_mov_b32_e32 v153, v47
	v_pk_fma_f32 v[164:165], v[124:125], s[48:49], v[160:161] op_sel:[1,0,0] neg_lo:[1,0,0] neg_hi:[1,0,0]
	v_pk_fma_f32 v[166:167], v[96:97], s[48:49], v[160:161]
	v_pk_fma_f32 v[46:47], v[92:93], s[28:29], v[154:155] neg_lo:[0,0,1] neg_hi:[0,0,1]
	v_mov_b32_e32 v165, v167
	v_pk_add_f32 v[52:53], v[164:165], v[52:53]
	v_pk_mul_f32 v[164:165], v[128:129], s[42:43]
	v_mov_b32_e32 v159, v47
	v_pk_fma_f32 v[168:169], v[126:127], s[30:31], v[164:165] op_sel:[1,0,0] neg_lo:[1,0,0] neg_hi:[1,0,0]
	v_pk_fma_f32 v[170:171], v[98:99], s[30:31], v[164:165]
	v_pk_add_f32 v[46:47], v[44:45], v[152:153]
	v_mov_b32_e32 v169, v171
	v_pk_add_f32 v[168:169], v[168:169], v[52:53]
	v_pk_fma_f32 v[52:53], v[94:95], s[6:7], v[156:157] neg_lo:[0,0,1] neg_hi:[0,0,1]
	v_pk_add_f32 v[46:47], v[158:159], v[46:47]
	v_mov_b32_e32 v163, v53
	v_pk_add_f32 v[152:153], v[162:163], v[46:47]
	v_pk_add_f32 v[46:47], v[54:55], v[50:51]
	;; [unrolled: 1-line block ×3, first 2 shown]
	v_pk_fma_f32 v[48:49], v[96:97], s[48:49], v[160:161] neg_lo:[0,0,1] neg_hi:[0,0,1]
	v_pk_mul_f32 v[50:51], v[100:101], s[18:19]
	v_pk_fma_f32 v[54:55], v[98:99], s[30:31], v[164:165] neg_lo:[0,0,1] neg_hi:[0,0,1]
	v_mov_b32_e32 v167, v49
	v_mov_b32_e32 v171, v55
	v_pk_fma_f32 v[54:55], v[56:57], s[26:27], v[50:51]
	v_pk_fma_f32 v[150:151], v[56:57], s[26:27], v[50:51] neg_lo:[1,0,0] neg_hi:[1,0,0]
	v_pk_fma_f32 v[50:51], v[56:57], s[26:27], v[50:51] neg_lo:[0,0,1] neg_hi:[0,0,1]
	v_pk_add_f32 v[48:49], v[166:167], v[152:153]
	v_mov_b32_e32 v150, v54
	v_mov_b32_e32 v51, v55
	v_pk_mul_f32 v[54:55], v[136:137], s[38:39]
	v_pk_add_f32 v[48:49], v[170:171], v[48:49]
	v_pk_fma_f32 v[118:119], v[118:119], s[22:23], v[54:55] op_sel:[1,0,0] neg_lo:[1,0,0] neg_hi:[1,0,0]
	v_pk_fma_f32 v[136:137], v[84:85], s[22:23], v[54:55]
	v_pk_mul_f32 v[134:135], v[134:135], s[42:43]
	v_pk_add_f32 v[48:49], v[150:151], v[48:49]
	v_mov_b32_e32 v119, v137
	v_pk_fma_f32 v[120:121], v[120:121], s[30:31], v[134:135] op_sel:[1,0,0] neg_lo:[1,0,0] neg_hi:[1,0,0]
	v_pk_fma_f32 v[150:151], v[92:93], s[30:31], v[134:135]
	v_pk_add_f32 v[118:119], v[44:45], v[118:119]
	v_mov_b32_e32 v121, v151
	v_pk_add_f32 v[118:119], v[120:121], v[118:119]
	v_pk_mul_f32 v[120:121], v[132:133], s[34:35]
	v_pk_fma_f32 v[54:55], v[84:85], s[22:23], v[54:55] neg_lo:[0,0,1] neg_hi:[0,0,1]
	v_pk_fma_f32 v[122:123], v[122:123], s[20:21], v[120:121] op_sel:[1,0,0] neg_lo:[1,0,0] neg_hi:[1,0,0]
	v_pk_fma_f32 v[132:133], v[94:95], s[20:21], v[120:121]
	v_mov_b32_e32 v137, v55
	v_mov_b32_e32 v123, v133
	v_pk_add_f32 v[118:119], v[122:123], v[118:119]
	v_pk_mul_f32 v[122:123], v[130:131], s[46:47]
	v_pk_fma_f32 v[134:135], v[92:93], s[30:31], v[134:135] neg_lo:[0,0,1] neg_hi:[0,0,1]
	v_pk_fma_f32 v[124:125], v[124:125], s[44:45], v[122:123] op_sel:[1,0,0] neg_lo:[1,0,0] neg_hi:[1,0,0]
	v_pk_fma_f32 v[130:131], v[96:97], s[44:45], v[122:123]
	v_pk_add_f32 v[54:55], v[44:45], v[136:137]
	v_mov_b32_e32 v125, v131
	v_pk_add_f32 v[118:119], v[124:125], v[118:119]
	v_pk_mul_f32 v[124:125], v[128:129], s[26:27]
	v_mov_b32_e32 v151, v135
	v_pk_fma_f32 v[126:127], v[126:127], s[18:19], v[124:125] op_sel:[1,0,0] neg_lo:[1,0,0] neg_hi:[1,0,0]
	v_pk_fma_f32 v[128:129], v[98:99], s[18:19], v[124:125]
	v_pk_fma_f32 v[120:121], v[94:95], s[20:21], v[120:121] neg_lo:[0,0,1] neg_hi:[0,0,1]
	v_mov_b32_e32 v127, v129
	v_pk_add_f32 v[54:55], v[150:151], v[54:55]
	v_mov_b32_e32 v133, v121
	v_pk_fma_f32 v[120:121], v[96:97], s[44:45], v[122:123] neg_lo:[0,0,1] neg_hi:[0,0,1]
	v_pk_add_f32 v[118:119], v[126:127], v[118:119]
	v_pk_mul_f32 v[126:127], v[100:101], s[28:29]
	v_pk_add_f32 v[54:55], v[132:133], v[54:55]
	v_mov_b32_e32 v131, v121
	v_pk_fma_f32 v[120:121], v[98:99], s[18:19], v[124:125] neg_lo:[0,0,1] neg_hi:[0,0,1]
	v_pk_add_f32 v[54:55], v[130:131], v[54:55]
	v_mov_b32_e32 v129, v121
	v_pk_fma_f32 v[120:121], v[56:57], s[36:37], v[126:127]
	v_pk_fma_f32 v[122:123], v[56:57], s[36:37], v[126:127] neg_lo:[1,0,0] neg_hi:[1,0,0]
	v_pk_fma_f32 v[56:57], v[56:57], s[36:37], v[126:127] neg_lo:[0,0,1] neg_hi:[0,0,1]
	v_pk_add_f32 v[54:55], v[128:129], v[54:55]
	v_mov_b32_e32 v122, v120
	v_mov_b32_e32 v57, v121
	v_pk_add_f32 v[50:51], v[50:51], v[168:169]
	v_pk_add_f32 v[54:55], v[122:123], v[54:55]
	;; [unrolled: 1-line block ×3, first 2 shown]
	s_barrier
	s_and_saveexec_b64 s[26:27], s[4:5]
	s_cbranch_execz .LBB0_17
; %bb.16:
	v_pk_mul_f32 v[118:119], v[84:85], s[0:1]
	v_pk_mul_f32 v[84:85], v[84:85], s[6:7]
	;; [unrolled: 1-line block ×4, first 2 shown]
	v_pk_add_f32 v[84:85], v[104:105], v[84:85] neg_lo:[0,1] neg_hi:[0,1]
	v_pk_add_f32 v[60:61], v[60:61], v[118:119] neg_lo:[0,1] neg_hi:[0,1]
	v_mov_b32_e32 v85, v103
	v_pk_add_f32 v[92:93], v[108:109], v[92:93] neg_lo:[0,1] neg_hi:[0,1]
	v_mov_b32_e32 v61, v59
	v_pk_add_f32 v[58:59], v[70:71], v[120:121] neg_lo:[0,1] neg_hi:[0,1]
	v_pk_mul_f32 v[122:123], v[94:95], s[16:17]
	v_pk_mul_f32 v[94:95], v[94:95], s[22:23]
	v_pk_add_f32 v[84:85], v[44:45], v[84:85]
	v_mov_b32_e32 v93, v107
	v_pk_add_f32 v[44:45], v[44:45], v[60:61]
	v_mov_b32_e32 v59, v63
	v_pk_add_f32 v[84:85], v[92:93], v[84:85]
	v_pk_add_f32 v[92:93], v[112:113], v[94:95] neg_lo:[0,1] neg_hi:[0,1]
	v_pk_add_f32 v[44:45], v[58:59], v[44:45]
	v_pk_add_f32 v[58:59], v[74:75], v[122:123] neg_lo:[0,1] neg_hi:[0,1]
	v_pk_mul_f32 v[124:125], v[96:97], s[18:19]
	v_pk_mul_f32 v[96:97], v[96:97], s[24:25]
	v_mov_b32_e32 v93, v111
	v_mov_b32_e32 v59, v73
	v_pk_add_f32 v[84:85], v[92:93], v[84:85]
	v_pk_add_f32 v[92:93], v[116:117], v[96:97] neg_lo:[0,1] neg_hi:[0,1]
	v_pk_add_f32 v[44:45], v[58:59], v[44:45]
	v_pk_add_f32 v[58:59], v[78:79], v[124:125] neg_lo:[0,1] neg_hi:[0,1]
	v_pk_mul_f32 v[126:127], v[98:99], s[20:21]
	v_pk_mul_f32 v[98:99], v[98:99], s[28:29]
	v_mov_b32_e32 v93, v115
	v_mov_b32_e32 v59, v77
	v_pk_add_f32 v[84:85], v[92:93], v[84:85]
	v_pk_add_f32 v[92:93], v[140:141], v[98:99] neg_lo:[0,1] neg_hi:[0,1]
	v_pk_add_f32 v[44:45], v[58:59], v[44:45]
	v_pk_add_f32 v[58:59], v[82:83], v[126:127] neg_lo:[0,1] neg_hi:[0,1]
	v_pk_mul_f32 v[128:129], v[100:101], s[22:23]
	v_pk_mul_f32 v[100:101], v[100:101], s[30:31]
	v_mov_b32_e32 v93, v139
	v_mov_b32_e32 v59, v81
	v_pk_add_f32 v[84:85], v[92:93], v[84:85]
	v_pk_add_f32 v[92:93], v[144:145], v[100:101] neg_lo:[0,1] neg_hi:[0,1]
	v_pk_add_f32 v[44:45], v[58:59], v[44:45]
	v_pk_add_f32 v[58:59], v[88:89], v[128:129] neg_lo:[0,1] neg_hi:[0,1]
	v_mov_b32_e32 v93, v143
	v_mov_b32_e32 v59, v87
	v_lshlrev_b32_e32 v62, 3, v148
	v_pk_add_f32 v[84:85], v[92:93], v[84:85]
	v_pk_add_f32 v[44:45], v[58:59], v[44:45]
	ds_write2_b64 v62, v[40:41], v[42:43] offset1:1
	ds_write2_b64 v62, v[36:37], v[38:39] offset0:2 offset1:3
	ds_write2_b64 v62, v[46:47], v[48:49] offset0:4 offset1:5
	;; [unrolled: 1-line block ×5, first 2 shown]
	ds_write_b64 v62, v[44:45] offset:96
.LBB0_17:
	s_or_b64 exec, exec, s[26:27]
	s_waitcnt lgkmcnt(0)
	s_barrier
	s_and_saveexec_b64 s[0:1], s[2:3]
	s_cbranch_execz .LBB0_19
; %bb.18:
	v_add_u32_e32 v44, 0x1000, v64
	ds_read2_b64 v[46:49], v44 offset0:8 offset1:138
	v_add_u32_e32 v44, 0x1800, v64
	v_add_u32_e32 v36, 0x800, v64
	ds_read2_b64 v[54:57], v44 offset0:12 offset1:142
	v_add_u32_e32 v44, 0x2000, v64
	ds_read2_b64 v[40:43], v64 offset1:130
	ds_read2_b64 v[36:39], v36 offset0:4 offset1:134
	ds_read2_b64 v[50:53], v44 offset0:16 offset1:146
	ds_read_b64 v[90:91], v64 offset:10400
.LBB0_19:
	s_or_b64 exec, exec, s[0:1]
	v_mov_b32_e32 v58, v22
	v_mov_b32_e32 v59, v22
	;; [unrolled: 1-line block ×21, first 2 shown]
	s_waitcnt lgkmcnt(0)
	s_barrier
	s_and_saveexec_b64 s[0:1], s[2:3]
	s_cbranch_execz .LBB0_21
; %bb.20:
	v_pk_mul_f32 v[78:79], v[18:19], v[90:91] op_sel:[0,1]
	v_pk_mul_f32 v[82:83], v[16:17], v[52:53] op_sel:[0,1]
	v_pk_fma_f32 v[98:99], v[18:19], v[90:91], v[78:79] op_sel:[0,0,1] op_sel_hi:[1,1,0]
	v_pk_fma_f32 v[18:19], v[18:19], v[90:91], v[78:79] op_sel:[0,0,1] op_sel_hi:[1,0,0] neg_lo:[1,0,0] neg_hi:[1,0,0]
	v_pk_mul_f32 v[80:81], v[2:3], v[36:37] op_sel:[0,1]
	v_mov_b32_e32 v99, v19
	v_pk_fma_f32 v[18:19], v[16:17], v[52:53], v[82:83] op_sel:[0,0,1] op_sel_hi:[1,1,0]
	v_pk_fma_f32 v[16:17], v[16:17], v[52:53], v[82:83] op_sel:[0,0,1] op_sel_hi:[1,0,0] neg_lo:[1,0,0] neg_hi:[1,0,0]
	v_pk_mul_f32 v[86:87], v[10:11], v[50:51] op_sel:[0,1]
	v_mov_b32_e32 v19, v17
	;; [unrolled: 4-line block ×8, first 2 shown]
	v_pk_fma_f32 v[14:15], v[12:13], v[48:49], v[94:95] op_sel:[0,0,1] op_sel_hi:[1,1,0]
	v_pk_fma_f32 v[12:13], v[12:13], v[48:49], v[94:95] op_sel:[0,0,1] op_sel_hi:[1,0,0] neg_lo:[1,0,0] neg_hi:[1,0,0]
	s_mov_b32 s22, 0xbf0a6770
	v_mov_b32_e32 v15, v13
	v_pk_fma_f32 v[12:13], v[0:1], v[42:43], v[76:77] op_sel:[0,0,1] op_sel_hi:[1,1,0]
	v_pk_fma_f32 v[0:1], v[0:1], v[42:43], v[76:77] op_sel:[0,0,1] op_sel_hi:[1,0,0] neg_lo:[1,0,0] neg_hi:[1,0,0]
	v_pk_add_f32 v[38:39], v[16:17], v[18:19] neg_lo:[0,1] neg_hi:[0,1]
	v_mov_b32_e32 v13, v1
	v_pk_add_f32 v[0:1], v[12:13], v[98:99] neg_lo:[0,1] neg_hi:[0,1]
	v_pk_add_f32 v[36:37], v[98:99], v[12:13]
	s_mov_b32 s2, 0x3f575c64
	v_pk_mul_f32 v[76:77], v[0:1], s[22:23] op_sel_hi:[1,0]
	s_mov_b32 s30, 0xbf68dda4
	v_pk_add_f32 v[42:43], v[18:19], v[16:17]
	v_pk_fma_f32 v[78:79], v[36:37], s[2:3], v[76:77] op_sel:[0,0,1] op_sel_hi:[1,0,0]
	v_pk_fma_f32 v[76:77], v[36:37], s[2:3], v[76:77] op_sel:[0,0,1] op_sel_hi:[1,0,0] neg_lo:[0,0,1] neg_hi:[0,0,1]
	s_mov_b32 s6, 0x3ed4b147
	v_pk_mul_f32 v[82:83], v[38:39], s[30:31] op_sel_hi:[1,0]
	v_mov_b32_e32 v80, v78
	v_mov_b32_e32 v81, v77
	v_pk_fma_f32 v[84:85], v[42:43], s[6:7], v[82:83] op_sel:[0,0,1] op_sel_hi:[1,0,0]
	v_pk_fma_f32 v[82:83], v[42:43], s[6:7], v[82:83] op_sel:[0,0,1] op_sel_hi:[1,0,0] neg_lo:[0,0,1] neg_hi:[0,0,1]
	v_pk_add_f32 v[46:47], v[10:11], v[2:3] neg_lo:[0,1] neg_hi:[0,1]
	v_pk_add_f32 v[80:81], v[40:41], v[80:81]
	v_mov_b32_e32 v86, v84
	v_mov_b32_e32 v87, v83
	s_mov_b32 s20, 0xbf7d64f0
	v_pk_add_f32 v[48:49], v[2:3], v[10:11]
	v_pk_add_f32 v[80:81], v[86:87], v[80:81]
	s_mov_b32 s16, 0xbe11bafb
	v_pk_mul_f32 v[86:87], v[46:47], s[20:21] op_sel_hi:[1,0]
	v_pk_add_f32 v[12:13], v[40:41], v[12:13]
	v_pk_fma_f32 v[88:89], v[48:49], s[16:17], v[86:87] op_sel:[0,0,1] op_sel_hi:[1,0,0]
	v_pk_fma_f32 v[86:87], v[48:49], s[16:17], v[86:87] op_sel:[0,0,1] op_sel_hi:[1,0,0] neg_lo:[0,0,1] neg_hi:[0,0,1]
	v_pk_add_f32 v[12:13], v[16:17], v[12:13]
	v_pk_add_f32 v[50:51], v[8:9], v[4:5] neg_lo:[0,1] neg_hi:[0,1]
	v_mov_b32_e32 v90, v88
	v_mov_b32_e32 v91, v87
	s_mov_b32 s24, 0xbf4178ce
	v_pk_add_f32 v[10:11], v[10:11], v[12:13]
	v_pk_add_f32 v[52:53], v[4:5], v[8:9]
	;; [unrolled: 1-line block ×3, first 2 shown]
	s_mov_b32 s18, 0xbf27a4f4
	v_pk_mul_f32 v[90:91], v[50:51], s[24:25] op_sel_hi:[1,0]
	v_pk_add_f32 v[8:9], v[8:9], v[10:11]
	v_pk_fma_f32 v[92:93], v[52:53], s[18:19], v[90:91] op_sel:[0,0,1] op_sel_hi:[1,0,0]
	v_pk_fma_f32 v[90:91], v[52:53], s[18:19], v[90:91] op_sel:[0,0,1] op_sel_hi:[1,0,0] neg_lo:[0,0,1] neg_hi:[0,0,1]
	v_pk_add_f32 v[8:9], v[14:15], v[8:9]
	v_pk_add_f32 v[54:55], v[14:15], v[6:7] neg_lo:[0,1] neg_hi:[0,1]
	v_pk_add_f32 v[56:57], v[6:7], v[14:15]
	v_mov_b32_e32 v94, v92
	v_mov_b32_e32 v95, v91
	s_mov_b32 s28, 0xbe903f40
	v_pk_add_f32 v[6:7], v[6:7], v[8:9]
	v_pk_add_f32 v[80:81], v[94:95], v[80:81]
	s_mov_b32 s26, 0xbf75a155
	v_pk_mul_f32 v[94:95], v[54:55], s[28:29] op_sel_hi:[1,0]
	v_pk_add_f32 v[4:5], v[4:5], v[6:7]
	v_pk_fma_f32 v[96:97], v[56:57], s[26:27], v[94:95] op_sel:[0,0,1] op_sel_hi:[1,0,0]
	v_pk_fma_f32 v[94:95], v[56:57], s[26:27], v[94:95] op_sel:[0,0,1] op_sel_hi:[1,0,0] neg_lo:[0,0,1] neg_hi:[0,0,1]
	v_pk_add_f32 v[2:3], v[2:3], v[4:5]
	v_mul_u32_u24_e32 v65, 0x8f, v146
	v_mov_b32_e32 v100, v96
	v_mov_b32_e32 v101, v95
	v_pk_add_f32 v[2:3], v[18:19], v[2:3]
	v_add_lshl_u32 v65, v65, v147, 3
	v_pk_add_f32 v[80:81], v[100:101], v[80:81]
	v_pk_add_f32 v[2:3], v[98:99], v[2:3]
	ds_write2_b64 v65, v[2:3], v[80:81] offset1:13
	v_pk_mul_f32 v[2:3], v[0:1], s[30:31] op_sel_hi:[1,0]
	v_pk_mul_f32 v[8:9], v[38:39], s[24:25] op_sel_hi:[1,0]
	v_pk_fma_f32 v[4:5], v[36:37], s[6:7], v[2:3] op_sel:[0,0,1] op_sel_hi:[1,0,0]
	v_pk_fma_f32 v[2:3], v[36:37], s[6:7], v[2:3] op_sel:[0,0,1] op_sel_hi:[1,0,0] neg_lo:[0,0,1] neg_hi:[0,0,1]
	v_mov_b32_e32 v6, v4
	v_mov_b32_e32 v7, v3
	v_pk_fma_f32 v[10:11], v[42:43], s[18:19], v[8:9] op_sel:[0,0,1] op_sel_hi:[1,0,0]
	v_pk_fma_f32 v[8:9], v[42:43], s[18:19], v[8:9] op_sel:[0,0,1] op_sel_hi:[1,0,0] neg_lo:[0,0,1] neg_hi:[0,0,1]
	v_pk_add_f32 v[6:7], v[40:41], v[6:7]
	v_mov_b32_e32 v12, v10
	v_mov_b32_e32 v13, v9
	s_mov_b32 s30, 0x3e903f40
	v_pk_add_f32 v[6:7], v[12:13], v[6:7]
	v_pk_mul_f32 v[12:13], v[46:47], s[30:31] op_sel_hi:[1,0]
	s_mov_b32 s34, 0x3f7d64f0
	v_pk_fma_f32 v[14:15], v[48:49], s[26:27], v[12:13] op_sel:[0,0,1] op_sel_hi:[1,0,0]
	v_pk_fma_f32 v[12:13], v[48:49], s[26:27], v[12:13] op_sel:[0,0,1] op_sel_hi:[1,0,0] neg_lo:[0,0,1] neg_hi:[0,0,1]
	v_mov_b32_e32 v16, v14
	v_mov_b32_e32 v17, v13
	v_pk_add_f32 v[6:7], v[16:17], v[6:7]
	v_pk_mul_f32 v[16:17], v[50:51], s[34:35] op_sel_hi:[1,0]
	s_mov_b32 s36, 0x3f0a6770
	v_pk_fma_f32 v[18:19], v[52:53], s[16:17], v[16:17] op_sel:[0,0,1] op_sel_hi:[1,0,0]
	v_pk_fma_f32 v[16:17], v[52:53], s[16:17], v[16:17] op_sel:[0,0,1] op_sel_hi:[1,0,0] neg_lo:[0,0,1] neg_hi:[0,0,1]
	v_mov_b32_e32 v80, v18
	v_mov_b32_e32 v81, v17
	v_pk_add_f32 v[6:7], v[80:81], v[6:7]
	v_pk_mul_f32 v[80:81], v[54:55], s[36:37] op_sel_hi:[1,0]
	v_pk_mul_f32 v[106:107], v[38:39], s[30:31] op_sel_hi:[1,0]
	v_pk_fma_f32 v[98:99], v[56:57], s[2:3], v[80:81] op_sel:[0,0,1] op_sel_hi:[1,0,0]
	v_pk_fma_f32 v[80:81], v[56:57], s[2:3], v[80:81] op_sel:[0,0,1] op_sel_hi:[1,0,0] neg_lo:[0,0,1] neg_hi:[0,0,1]
	v_mov_b32_e32 v100, v98
	v_mov_b32_e32 v101, v81
	v_pk_add_f32 v[6:7], v[100:101], v[6:7]
	v_pk_mul_f32 v[100:101], v[0:1], s[20:21] op_sel_hi:[1,0]
	v_pk_fma_f32 v[108:109], v[42:43], s[26:27], v[106:107] op_sel:[0,0,1] op_sel_hi:[1,0,0]
	v_pk_fma_f32 v[102:103], v[36:37], s[16:17], v[100:101] op_sel:[0,0,1] op_sel_hi:[1,0,0]
	v_pk_fma_f32 v[100:101], v[36:37], s[16:17], v[100:101] op_sel:[0,0,1] op_sel_hi:[1,0,0] neg_lo:[0,0,1] neg_hi:[0,0,1]
	v_mov_b32_e32 v104, v102
	v_mov_b32_e32 v105, v101
	v_pk_fma_f32 v[106:107], v[42:43], s[26:27], v[106:107] op_sel:[0,0,1] op_sel_hi:[1,0,0] neg_lo:[0,0,1] neg_hi:[0,0,1]
	v_pk_add_f32 v[104:105], v[40:41], v[104:105]
	v_mov_b32_e32 v110, v108
	v_mov_b32_e32 v111, v107
	s_mov_b32 s30, 0x3f68dda4
	v_pk_add_f32 v[104:105], v[110:111], v[104:105]
	v_pk_mul_f32 v[110:111], v[46:47], s[30:31] op_sel_hi:[1,0]
	v_pk_mul_f32 v[124:125], v[38:39], s[34:35] op_sel_hi:[1,0]
	v_pk_fma_f32 v[112:113], v[48:49], s[6:7], v[110:111] op_sel:[0,0,1] op_sel_hi:[1,0,0]
	v_pk_fma_f32 v[110:111], v[48:49], s[6:7], v[110:111] op_sel:[0,0,1] op_sel_hi:[1,0,0] neg_lo:[0,0,1] neg_hi:[0,0,1]
	v_mov_b32_e32 v114, v112
	v_mov_b32_e32 v115, v111
	v_pk_add_f32 v[104:105], v[114:115], v[104:105]
	v_pk_mul_f32 v[114:115], v[50:51], s[22:23] op_sel_hi:[1,0]
	v_pk_fma_f32 v[126:127], v[42:43], s[16:17], v[124:125] op_sel:[0,0,1] op_sel_hi:[1,0,0]
	v_pk_fma_f32 v[116:117], v[52:53], s[2:3], v[114:115] op_sel:[0,0,1] op_sel_hi:[1,0,0]
	v_pk_fma_f32 v[114:115], v[52:53], s[2:3], v[114:115] op_sel:[0,0,1] op_sel_hi:[1,0,0] neg_lo:[0,0,1] neg_hi:[0,0,1]
	v_mov_b32_e32 v118, v116
	v_mov_b32_e32 v119, v115
	v_pk_add_f32 v[104:105], v[118:119], v[104:105]
	v_pk_mul_f32 v[118:119], v[54:55], s[24:25] op_sel_hi:[1,0]
	v_pk_fma_f32 v[124:125], v[42:43], s[16:17], v[124:125] op_sel:[0,0,1] op_sel_hi:[1,0,0] neg_lo:[0,0,1] neg_hi:[0,0,1]
	v_pk_fma_f32 v[120:121], v[56:57], s[18:19], v[118:119] op_sel:[0,0,1] op_sel_hi:[1,0,0]
	v_pk_fma_f32 v[118:119], v[56:57], s[18:19], v[118:119] op_sel:[0,0,1] op_sel_hi:[1,0,0] neg_lo:[0,0,1] neg_hi:[0,0,1]
	v_mov_b32_e32 v122, v120
	v_mov_b32_e32 v123, v119
	v_pk_add_f32 v[104:105], v[122:123], v[104:105]
	ds_write2_b64 v65, v[6:7], v[104:105] offset0:26 offset1:39
	v_pk_mul_f32 v[6:7], v[0:1], s[24:25] op_sel_hi:[1,0]
	v_mov_b32_e32 v128, v126
	v_pk_fma_f32 v[104:105], v[36:37], s[18:19], v[6:7] op_sel:[0,0,1] op_sel_hi:[1,0,0]
	v_pk_fma_f32 v[6:7], v[36:37], s[18:19], v[6:7] op_sel:[0,0,1] op_sel_hi:[1,0,0] neg_lo:[0,0,1] neg_hi:[0,0,1]
	v_mov_b32_e32 v122, v104
	v_mov_b32_e32 v123, v7
	v_pk_add_f32 v[122:123], v[40:41], v[122:123]
	v_mov_b32_e32 v129, v125
	v_pk_add_f32 v[122:123], v[128:129], v[122:123]
	v_pk_mul_f32 v[128:129], v[46:47], s[22:23] op_sel_hi:[1,0]
	v_pk_mul_f32 v[0:1], v[0:1], s[28:29] op_sel_hi:[1,0]
	v_pk_fma_f32 v[130:131], v[48:49], s[2:3], v[128:129] op_sel:[0,0,1] op_sel_hi:[1,0,0]
	v_pk_fma_f32 v[128:129], v[48:49], s[2:3], v[128:129] op_sel:[0,0,1] op_sel_hi:[1,0,0] neg_lo:[0,0,1] neg_hi:[0,0,1]
	v_mov_b32_e32 v132, v130
	v_mov_b32_e32 v133, v129
	v_pk_add_f32 v[122:123], v[132:133], v[122:123]
	v_pk_mul_f32 v[132:133], v[50:51], s[28:29] op_sel_hi:[1,0]
	v_pk_mul_f32 v[38:39], v[38:39], s[36:37] op_sel_hi:[1,0]
	v_pk_fma_f32 v[134:135], v[52:53], s[26:27], v[132:133] op_sel:[0,0,1] op_sel_hi:[1,0,0]
	v_pk_fma_f32 v[132:133], v[52:53], s[26:27], v[132:133] op_sel:[0,0,1] op_sel_hi:[1,0,0] neg_lo:[0,0,1] neg_hi:[0,0,1]
	v_mov_b32_e32 v136, v134
	v_mov_b32_e32 v137, v133
	v_pk_add_f32 v[122:123], v[136:137], v[122:123]
	v_pk_mul_f32 v[136:137], v[54:55], s[30:31] op_sel_hi:[1,0]
	v_pk_fma_f32 v[142:143], v[42:43], s[2:3], v[38:39] op_sel:[0,0,1] op_sel_hi:[1,0,0]
	v_pk_fma_f32 v[138:139], v[56:57], s[6:7], v[136:137] op_sel:[0,0,1] op_sel_hi:[1,0,0]
	v_pk_fma_f32 v[136:137], v[56:57], s[6:7], v[136:137] op_sel:[0,0,1] op_sel_hi:[1,0,0] neg_lo:[0,0,1] neg_hi:[0,0,1]
	v_mov_b32_e32 v140, v138
	v_mov_b32_e32 v141, v137
	v_pk_add_f32 v[122:123], v[140:141], v[122:123]
	v_pk_fma_f32 v[140:141], v[36:37], s[26:27], v[0:1] op_sel:[0,0,1] op_sel_hi:[1,0,0]
	v_pk_fma_f32 v[0:1], v[36:37], s[26:27], v[0:1] op_sel:[0,0,1] op_sel_hi:[1,0,0] neg_lo:[0,0,1] neg_hi:[0,0,1]
	v_mov_b32_e32 v36, v140
	v_mov_b32_e32 v37, v1
	v_pk_fma_f32 v[38:39], v[42:43], s[2:3], v[38:39] op_sel:[0,0,1] op_sel_hi:[1,0,0] neg_lo:[0,0,1] neg_hi:[0,0,1]
	v_pk_mul_f32 v[46:47], v[46:47], s[24:25] op_sel_hi:[1,0]
	v_pk_add_f32 v[36:37], v[40:41], v[36:37]
	v_mov_b32_e32 v42, v142
	v_mov_b32_e32 v43, v39
	v_pk_add_f32 v[36:37], v[42:43], v[36:37]
	v_pk_fma_f32 v[42:43], v[48:49], s[18:19], v[46:47] op_sel:[0,0,1] op_sel_hi:[1,0,0]
	v_pk_fma_f32 v[46:47], v[48:49], s[18:19], v[46:47] op_sel:[0,0,1] op_sel_hi:[1,0,0] neg_lo:[0,0,1] neg_hi:[0,0,1]
	v_pk_mul_f32 v[50:51], v[50:51], s[30:31] op_sel_hi:[1,0]
	v_mov_b32_e32 v48, v42
	v_mov_b32_e32 v49, v47
	;; [unrolled: 1-line block ×4, first 2 shown]
	v_pk_add_f32 v[36:37], v[48:49], v[36:37]
	v_pk_fma_f32 v[48:49], v[52:53], s[6:7], v[50:51] op_sel:[0,0,1] op_sel_hi:[1,0,0]
	v_pk_fma_f32 v[50:51], v[52:53], s[6:7], v[50:51] op_sel:[0,0,1] op_sel_hi:[1,0,0] neg_lo:[0,0,1] neg_hi:[0,0,1]
	v_pk_add_f32 v[0:1], v[40:41], v[0:1]
	v_mov_b32_e32 v39, v143
	v_pk_add_f32 v[6:7], v[40:41], v[6:7]
	v_mov_b32_e32 v125, v127
	v_pk_mul_f32 v[54:55], v[54:55], s[20:21] op_sel_hi:[1,0]
	v_mov_b32_e32 v52, v48
	v_mov_b32_e32 v53, v51
	v_pk_add_f32 v[0:1], v[38:39], v[0:1]
	v_mov_b32_e32 v47, v43
	v_pk_add_f32 v[6:7], v[124:125], v[6:7]
	v_mov_b32_e32 v129, v131
	v_pk_add_f32 v[36:37], v[52:53], v[36:37]
	v_pk_fma_f32 v[52:53], v[56:57], s[16:17], v[54:55] op_sel:[0,0,1] op_sel_hi:[1,0,0]
	v_pk_fma_f32 v[54:55], v[56:57], s[16:17], v[54:55] op_sel:[0,0,1] op_sel_hi:[1,0,0] neg_lo:[0,0,1] neg_hi:[0,0,1]
	v_pk_add_f32 v[0:1], v[46:47], v[0:1]
	v_mov_b32_e32 v51, v49
	v_pk_add_f32 v[6:7], v[128:129], v[6:7]
	v_mov_b32_e32 v133, v135
	v_mov_b32_e32 v57, v55
	v_pk_add_f32 v[0:1], v[50:51], v[0:1]
	v_mov_b32_e32 v55, v53
	v_pk_add_f32 v[6:7], v[132:133], v[6:7]
	;; [unrolled: 2-line block ×3, first 2 shown]
	v_pk_add_f32 v[6:7], v[136:137], v[6:7]
	v_mov_b32_e32 v101, v103
	v_mov_b32_e32 v3, v5
	ds_write2_b64 v65, v[0:1], v[6:7] offset0:78 offset1:91
	v_pk_add_f32 v[0:1], v[40:41], v[100:101]
	v_mov_b32_e32 v107, v109
	v_pk_add_f32 v[2:3], v[40:41], v[2:3]
	v_mov_b32_e32 v9, v11
	;; [unrolled: 2-line block ×8, first 2 shown]
	v_pk_add_f32 v[0:1], v[118:119], v[0:1]
	v_pk_add_f32 v[2:3], v[80:81], v[2:3]
	v_mov_b32_e32 v77, v79
	ds_write2_b64 v65, v[0:1], v[2:3] offset0:104 offset1:117
	v_pk_add_f32 v[0:1], v[40:41], v[76:77]
	v_mov_b32_e32 v83, v85
	v_pk_add_f32 v[0:1], v[82:83], v[0:1]
	v_mov_b32_e32 v87, v89
	;; [unrolled: 2-line block ×3, first 2 shown]
	v_mov_b32_e32 v56, v52
	v_pk_add_f32 v[0:1], v[90:91], v[0:1]
	v_mov_b32_e32 v95, v97
	v_pk_add_f32 v[36:37], v[56:57], v[36:37]
	v_pk_add_f32 v[0:1], v[94:95], v[0:1]
	ds_write2_b64 v65, v[122:123], v[36:37] offset0:52 offset1:65
	ds_write_b64 v65, v[0:1] offset:1040
.LBB0_21:
	s_or_b64 exec, exec, s[0:1]
	s_waitcnt lgkmcnt(0)
	s_barrier
	ds_read2_b64 v[4:7], v64 offset1:143
	v_add_u32_e32 v2, 0x800, v64
	ds_read2_b64 v[8:11], v2 offset0:30 offset1:173
	v_add_u32_e32 v1, 0x1000, v64
	ds_read2_b64 v[12:15], v1 offset0:60 offset1:203
	s_waitcnt lgkmcnt(2)
	v_pk_mul_f32 v[32:33], v[32:33], v[6:7]
	v_add_u32_e32 v0, 0x1800, v64
	v_pk_fma_f32 v[40:41], v[74:75], v[6:7], v[32:33] op_sel:[0,0,1] op_sel_hi:[1,1,0]
	v_pk_fma_f32 v[6:7], v[74:75], v[6:7], v[32:33] op_sel:[0,0,1] op_sel_hi:[1,1,0] neg_lo:[0,0,1] neg_hi:[0,0,1]
	s_waitcnt lgkmcnt(1)
	v_pk_mul_f32 v[32:33], v[34:35], v[8:9]
	ds_read2_b64 v[16:19], v0 offset0:90 offset1:233
	v_pk_fma_f32 v[34:35], v[70:71], v[8:9], v[32:33] op_sel:[0,0,1] op_sel_hi:[1,1,0]
	v_pk_fma_f32 v[8:9], v[70:71], v[8:9], v[32:33] op_sel:[0,0,1] op_sel_hi:[1,1,0] neg_lo:[0,0,1] neg_hi:[0,0,1]
	v_add_u32_e32 v3, 0x2200, v64
	v_mov_b32_e32 v35, v9
	v_pk_mul_f32 v[8:9], v[28:29], v[10:11]
	ds_read2_b64 v[36:39], v3 offset0:56 offset1:199
	v_pk_fma_f32 v[28:29], v[72:73], v[10:11], v[8:9] op_sel:[0,0,1] op_sel_hi:[1,1,0]
	v_pk_fma_f32 v[8:9], v[72:73], v[10:11], v[8:9] op_sel:[0,0,1] op_sel_hi:[1,1,0] neg_lo:[0,0,1] neg_hi:[0,0,1]
	s_waitcnt lgkmcnt(2)
	v_pk_mul_f32 v[10:11], v[30:31], v[12:13] op_sel:[1,0]
	v_mov_b32_e32 v42, v28
	v_pk_fma_f32 v[32:33], v[30:31], v[12:13], v[10:11] op_sel:[0,0,1] op_sel_hi:[1,1,0]
	v_pk_fma_f32 v[10:11], v[30:31], v[12:13], v[10:11] op_sel:[0,0,1] op_sel_hi:[0,1,0] neg_lo:[0,0,1] neg_hi:[0,0,1]
	v_mov_b32_e32 v33, v11
	v_pk_mul_f32 v[10:11], v[24:25], v[14:15]
	v_mov_b32_e32 v29, v9
	v_pk_fma_f32 v[12:13], v[62:63], v[14:15], v[10:11] op_sel:[0,0,1] op_sel_hi:[1,1,0]
	v_pk_fma_f32 v[10:11], v[62:63], v[14:15], v[10:11] op_sel:[0,0,1] op_sel_hi:[1,1,0] neg_lo:[0,0,1] neg_hi:[0,0,1]
	s_waitcnt lgkmcnt(1)
	v_pk_mul_f32 v[14:15], v[26:27], v[16:17] op_sel:[1,0]
	v_mov_b32_e32 v13, v11
	v_pk_fma_f32 v[24:25], v[26:27], v[16:17], v[14:15] op_sel:[0,0,1] op_sel_hi:[1,1,0]
	v_pk_fma_f32 v[14:15], v[26:27], v[16:17], v[14:15] op_sel:[0,0,1] op_sel_hi:[0,1,0] neg_lo:[0,0,1] neg_hi:[0,0,1]
	v_mov_b32_e32 v25, v15
	v_pk_mul_f32 v[14:15], v[20:21], v[18:19]
	s_mov_b32 s0, 0x3e9e377a
	v_pk_fma_f32 v[16:17], v[60:61], v[18:19], v[14:15] op_sel:[0,0,1] op_sel_hi:[1,1,0]
	v_pk_fma_f32 v[14:15], v[60:61], v[18:19], v[14:15] op_sel:[0,0,1] op_sel_hi:[1,1,0] neg_lo:[0,0,1] neg_hi:[0,0,1]
	s_waitcnt lgkmcnt(0)
	v_pk_mul_f32 v[18:19], v[22:23], v[36:37]
	v_mov_b32_e32 v17, v15
	v_pk_fma_f32 v[20:21], v[58:59], v[36:37], v[18:19] op_sel:[0,0,1] op_sel_hi:[1,1,0]
	v_pk_fma_f32 v[18:19], v[58:59], v[36:37], v[18:19] op_sel:[0,0,1] op_sel_hi:[1,1,0] neg_lo:[0,0,1] neg_hi:[0,0,1]
	v_pk_add_f32 v[30:31], v[12:13], v[16:17]
	v_mov_b32_e32 v21, v19
	v_pk_mul_f32 v[18:19], v[68:69], v[38:39]
	v_fma_f32 v8, -0.5, v30, v40
	v_pk_fma_f32 v[22:23], v[44:45], v[38:39], v[18:19] op_sel:[0,0,1] op_sel_hi:[1,1,0]
	v_pk_fma_f32 v[18:19], v[44:45], v[38:39], v[18:19] op_sel:[0,0,1] op_sel_hi:[1,1,0] neg_lo:[0,0,1] neg_hi:[0,0,1]
	v_mov_b32_e32 v43, v22
	v_mov_b32_e32 v44, v12
	;; [unrolled: 1-line block ×3, first 2 shown]
	v_pk_add_f32 v[46:47], v[42:43], v[44:45] neg_lo:[0,1] neg_hi:[0,1]
	v_mov_b32_e32 v23, v19
	v_mov_b32_e32 v6, v47
	v_pk_add_f32 v[38:39], v[12:13], v[16:17] neg_lo:[0,1] neg_hi:[0,1]
	v_pk_add_f32 v[46:47], v[46:47], v[6:7]
	v_pk_add_f32 v[36:37], v[28:29], v[22:23] neg_lo:[0,1] neg_hi:[0,1]
	v_mov_b32_e32 v47, v39
	s_mov_b32 s1, 0x3f167918
	v_fmamk_f32 v10, v37, 0xbf737871, v8
	v_pk_mul_f32 v[46:47], v[46:47], s[0:1]
	v_fmac_f32_e32 v8, 0x3f737871, v37
	v_pk_add_f32 v[42:43], v[44:45], v[42:43] neg_lo:[0,1] neg_hi:[0,1]
	v_sub_f32_e32 v6, v10, v47
	v_add_f32_e32 v8, v47, v8
	v_mov_b32_e32 v10, v43
	v_add_f32_e32 v6, v46, v6
	v_add_f32_e32 v8, v46, v8
	v_pk_add_f32 v[46:47], v[28:29], v[22:23]
	v_mov_b32_e32 v14, v40
	v_pk_add_f32 v[42:43], v[42:43], v[10:11]
	v_fmac_f32_e32 v14, -0.5, v46
	v_mov_b32_e32 v43, v37
	v_mov_b32_e32 v41, v7
	v_fmamk_f32 v18, v39, 0x3f737871, v14
	v_pk_mul_f32 v[42:43], v[42:43], s[0:1]
	v_fmac_f32_e32 v14, 0xbf737871, v39
	v_add_f32_e32 v14, v43, v14
	v_pk_add_f32 v[28:29], v[40:41], v[28:29]
	v_sub_f32_e32 v10, v18, v43
	v_add_f32_e32 v30, v42, v14
	v_pk_add_f32 v[12:13], v[28:29], v[12:13]
	v_mov_b32_e32 v18, v9
	v_mov_b32_e32 v14, v11
	v_pk_add_f32 v[12:13], v[12:13], v[16:17]
	v_pk_add_f32 v[16:17], v[18:19], v[14:15] neg_lo:[0,1] neg_hi:[0,1]
	v_pk_add_f32 v[12:13], v[12:13], v[22:23]
	v_fma_f32 v23, -0.5, v31, v7
	v_mov_b32_e32 v22, v17
	v_pk_add_f32 v[16:17], v[16:17], v[22:23]
	v_fmamk_f32 v28, v36, 0x3f737871, v23
	v_mov_b32_e32 v17, v38
	v_pk_mul_f32 v[16:17], v[16:17], s[0:1]
	v_pk_add_f32 v[14:15], v[14:15], v[18:19] neg_lo:[0,1] neg_hi:[0,1]
	v_add_f32_e32 v9, v17, v28
	v_fmac_f32_e32 v23, 0xbf737871, v36
	v_mov_b32_e32 v18, v15
	v_add_f32_e32 v22, v16, v9
	v_sub_f32_e32 v9, v23, v17
	v_fmac_f32_e32 v7, -0.5, v47
	v_pk_add_f32 v[14:15], v[14:15], v[18:19]
	s_mov_b32 s2, 0x3f737871
	v_add_f32_e32 v16, v16, v9
	v_fmamk_f32 v9, v38, 0xbf737871, v7
	v_mov_b32_e32 v15, v36
	v_fmac_f32_e32 v7, 0x3f737871, v38
	v_pk_add_f32 v[36:37], v[32:33], v[24:25]
	v_pk_add_f32 v[38:39], v[34:35], v[20:21] neg_lo:[0,1] neg_hi:[0,1]
	v_add_f32_e32 v10, v42, v10
	v_pk_fma_f32 v[36:37], v[36:37], 0.5, v[4:5] op_sel_hi:[1,0,1] neg_lo:[1,0,0] neg_hi:[1,0,0]
	v_pk_mul_f32 v[40:41], v[38:39], s[2:3] op_sel_hi:[1,0]
	v_pk_add_f32 v[42:43], v[32:33], v[24:25] neg_lo:[0,1] neg_hi:[0,1]
	s_mov_b32 s16, s1
	v_pk_add_f32 v[46:47], v[34:35], v[32:33] neg_lo:[0,1] neg_hi:[0,1]
	v_pk_add_f32 v[48:49], v[20:21], v[24:25] neg_lo:[0,1] neg_hi:[0,1]
	s_mov_b32 s18, 0x3f4f1bbd
	v_pk_add_f32 v[26:27], v[4:5], v[34:35]
	v_pk_mul_f32 v[14:15], v[14:15], s[0:1]
	v_pk_mul_f32 v[44:45], v[42:43], s[16:17] op_sel_hi:[1,0]
	v_pk_add_f32 v[46:47], v[46:47], v[48:49]
	v_pk_add_f32 v[48:49], v[36:37], v[40:41] op_sel:[0,1] op_sel_hi:[1,0] neg_lo:[0,1] neg_hi:[0,1]
	v_pk_add_f32 v[36:37], v[36:37], v[40:41] op_sel:[0,1] op_sel_hi:[1,0]
	s_mov_b32 s20, s1
	s_mov_b32 s21, s18
	v_pk_add_f32 v[26:27], v[26:27], v[32:33]
	v_add_f32_e32 v9, v15, v9
	v_sub_f32_e32 v7, v7, v15
	v_pk_add_f32 v[36:37], v[36:37], v[44:45] op_sel:[0,1] op_sel_hi:[1,0]
	v_pk_add_f32 v[40:41], v[48:49], v[44:45] op_sel:[0,1] op_sel_hi:[1,0] neg_lo:[0,1] neg_hi:[0,1]
	s_mov_b32 s19, s1
	v_pk_mul_f32 v[22:23], v[22:23], s[20:21] op_sel_hi:[0,1]
	v_pk_add_f32 v[26:27], v[26:27], v[24:25]
	v_add_f32_e32 v18, v14, v9
	v_add_f32_e32 v14, v14, v7
	v_mov_b32_e32 v44, v40
	v_mov_b32_e32 v45, v37
	v_pk_fma_f32 v[48:49], v[6:7], s[18:19], v[22:23] neg_lo:[0,0,1] neg_hi:[0,0,1]
	v_pk_fma_f32 v[6:7], v[6:7], s[18:19], v[22:23] op_sel_hi:[0,1,1]
	v_pk_add_f32 v[26:27], v[26:27], v[20:21]
	v_pk_fma_f32 v[44:45], v[46:47], s[0:1], v[44:45] op_sel_hi:[1,0,1]
	v_mov_b32_e32 v49, v7
	v_pk_add_f32 v[28:29], v[26:27], v[12:13]
	v_pk_add_f32 v[6:7], v[44:45], v[48:49]
	ds_write2_b64 v64, v[28:29], v[6:7] offset1:143
	v_pk_add_f32 v[6:7], v[34:35], v[20:21]
	s_mov_b32 s3, s0
	v_pk_fma_f32 v[4:5], v[6:7], 0.5, v[4:5] op_sel_hi:[1,0,1] neg_lo:[1,0,0] neg_hi:[1,0,0]
	v_pk_add_f32 v[6:7], v[32:33], v[34:35] neg_lo:[0,1] neg_hi:[0,1]
	v_pk_add_f32 v[20:21], v[24:25], v[20:21] neg_lo:[0,1] neg_hi:[0,1]
	s_mov_b32 s18, s0
	s_mov_b32 s19, s2
	v_pk_mul_f32 v[18:19], v[18:19], s[2:3] op_sel_hi:[0,1]
	v_pk_add_f32 v[6:7], v[6:7], v[20:21]
	v_pk_fma_f32 v[20:21], v[10:11], s[18:19], v[18:19] neg_lo:[0,0,1] neg_hi:[0,0,1]
	v_pk_fma_f32 v[10:11], v[10:11], s[18:19], v[18:19] op_sel_hi:[0,1,1]
	v_mov_b32_e32 v21, v11
	v_pk_mul_f32 v[10:11], v[42:43], s[2:3] op_sel_hi:[1,0]
	v_pk_mul_f32 v[18:19], v[38:39], s[16:17] op_sel_hi:[1,0]
	v_pk_add_f32 v[22:23], v[4:5], v[10:11] op_sel:[0,1] op_sel_hi:[1,0]
	v_pk_add_f32 v[4:5], v[4:5], v[10:11] op_sel:[0,1] op_sel_hi:[1,0] neg_lo:[0,1] neg_hi:[0,1]
	v_pk_add_f32 v[10:11], v[22:23], v[18:19] op_sel:[0,1] op_sel_hi:[1,0] neg_lo:[0,1] neg_hi:[0,1]
	v_pk_add_f32 v[4:5], v[4:5], v[18:19] op_sel:[0,1] op_sel_hi:[1,0]
	v_mov_b32_e32 v18, v10
	v_mov_b32_e32 v19, v5
	s_mov_b32 s16, 0xbe9e377a
	s_mov_b32 s17, s2
	v_pk_mul_f32 v[14:15], v[14:15], s[2:3] op_sel_hi:[0,1]
	v_mov_b32_e32 v5, v11
	v_pk_fma_f32 v[18:19], v[6:7], s[0:1], v[18:19] op_sel_hi:[1,0,1]
	v_pk_fma_f32 v[14:15], v[30:31], s[16:17], v[14:15] op_sel_hi:[0,1,1] neg_lo:[0,0,1] neg_hi:[0,0,1]
	v_pk_fma_f32 v[4:5], v[6:7], s[0:1], v[4:5] op_sel_hi:[1,0,1]
	v_pk_add_f32 v[22:23], v[18:19], v[20:21]
	v_pk_add_f32 v[6:7], v[4:5], v[14:15]
	ds_write2_b64 v2, v[22:23], v[6:7] offset0:30 offset1:173
	s_mov_b32 s2, 0xbf4f1bbd
	s_mov_b32 s3, s1
	v_pk_mul_f32 v[6:7], v[16:17], s[20:21] op_sel_hi:[0,1]
	v_mov_b32_e32 v37, v41
	v_pk_fma_f32 v[6:7], v[8:9], s[2:3], v[6:7] op_sel_hi:[0,1,1] neg_lo:[0,0,1] neg_hi:[0,0,1]
	v_pk_fma_f32 v[8:9], v[46:47], s[0:1], v[36:37] op_sel_hi:[1,0,1]
	v_pk_add_f32 v[12:13], v[26:27], v[12:13] neg_lo:[0,1] neg_hi:[0,1]
	v_pk_add_f32 v[10:11], v[8:9], v[6:7]
	s_movk_i32 s6, 0x1000
	ds_write2_b64 v1, v[10:11], v[12:13] offset0:60 offset1:203
	v_pk_add_f32 v[10:11], v[44:45], v[48:49] neg_lo:[0,1] neg_hi:[0,1]
	v_pk_add_f32 v[12:13], v[18:19], v[20:21] neg_lo:[0,1] neg_hi:[0,1]
	;; [unrolled: 1-line block ×4, first 2 shown]
	ds_write2_b64 v0, v[10:11], v[12:13] offset0:90 offset1:233
	ds_write2_b64 v3, v[4:5], v[6:7] offset0:56 offset1:199
	s_waitcnt lgkmcnt(0)
	s_barrier
	s_and_b64 exec, exec, s[4:5]
	s_cbranch_execz .LBB0_23
; %bb.22:
	global_load_dwordx2 v[12:13], v64, s[12:13]
	global_load_dwordx2 v[14:15], v64, s[12:13] offset:880
	global_load_dwordx2 v[16:17], v64, s[12:13] offset:1760
	;; [unrolled: 1-line block ×3, first 2 shown]
	ds_read_b64 v[20:21], v64
	global_load_dwordx2 v[26:27], v64, s[12:13] offset:3520
	v_mov_b32_e32 v65, 0
	v_mad_u64_u32 v[28:29], s[2:3], s8, v67, 0
	v_lshl_add_u64 v[30:31], s[12:13], 0, v[64:65]
	v_mov_b32_e32 v32, v29
	v_add_co_u32_e32 v34, vcc, s6, v30
	v_mad_u64_u32 v[32:33], s[4:5], s9, v67, v[32:33]
	s_nop 0
	v_addc_co_u32_e32 v35, vcc, 0, v31, vcc
	ds_read2_b64 v[4:7], v64 offset0:110 offset1:220
	ds_read2_b64 v[8:11], v2 offset0:74 offset1:184
	v_mov_b32_e32 v29, v32
	global_load_dwordx2 v[32:33], v[34:35], off offset:304
	global_load_dwordx2 v[36:37], v[34:35], off offset:1184
	;; [unrolled: 1-line block ×4, first 2 shown]
	v_mad_u64_u32 v[24:25], s[0:1], s10, v66, 0
	v_mov_b32_e32 v2, v25
	v_mad_u64_u32 v[2:3], s[4:5], s11, v66, v[2:3]
	v_mov_b32_e32 v22, s14
	v_mov_b32_e32 v23, s15
	;; [unrolled: 1-line block ×3, first 2 shown]
	v_lshl_add_u64 v[2:3], v[24:25], 3, v[22:23]
	v_lshl_add_u64 v[2:3], v[28:29], 3, v[2:3]
	s_mov_b32 s0, 0xd118b474
	v_mov_b32_e32 v42, 0x370
	s_mov_b32 s1, 0x3f46ea28
	s_mul_i32 s2, s9, 0x370
	v_mad_u64_u32 v[22:23], s[4:5], s8, v42, v[2:3]
	v_add_u32_e32 v23, s2, v23
	v_mad_u64_u32 v[24:25], s[4:5], s8, v42, v[22:23]
	v_add_u32_e32 v25, s2, v25
	s_movk_i32 s3, 0x2000
	s_waitcnt vmcnt(8) lgkmcnt(2)
	v_mul_f32_e32 v28, v21, v13
	v_mul_f32_e32 v13, v20, v13
	s_waitcnt vmcnt(7) lgkmcnt(1)
	v_mul_f32_e32 v29, v5, v15
	v_mul_f32_e32 v15, v4, v15
	s_waitcnt vmcnt(6)
	v_mul_f32_e32 v43, v7, v17
	v_mul_f32_e32 v17, v6, v17
	v_fmac_f32_e32 v28, v20, v12
	v_fma_f32 v12, v12, v21, -v13
	s_waitcnt vmcnt(5) lgkmcnt(0)
	v_mul_f32_e32 v44, v9, v19
	v_mul_f32_e32 v19, v8, v19
	v_fmac_f32_e32 v29, v4, v14
	v_fma_f32 v13, v14, v5, -v15
	v_fmac_f32_e32 v43, v6, v16
	v_fma_f32 v16, v16, v7, -v17
	v_cvt_f64_f32_e32 v[4:5], v28
	v_cvt_f64_f32_e32 v[6:7], v12
	v_fmac_f32_e32 v44, v8, v18
	v_fma_f32 v20, v18, v9, -v19
	v_cvt_f64_f32_e32 v[8:9], v29
	v_cvt_f64_f32_e32 v[12:13], v13
	;; [unrolled: 1-line block ×4, first 2 shown]
	v_mul_f64 v[4:5], v[4:5], s[0:1]
	v_mul_f64 v[6:7], v[6:7], s[0:1]
	;; [unrolled: 1-line block ×6, first 2 shown]
	v_cvt_f32_f64_e32 v4, v[4:5]
	v_cvt_f32_f64_e32 v5, v[6:7]
	;; [unrolled: 1-line block ×6, first 2 shown]
	global_store_dwordx2 v[2:3], v[4:5], off
	global_store_dwordx2 v[22:23], v[6:7], off
	;; [unrolled: 1-line block ×3, first 2 shown]
	s_waitcnt vmcnt(7)
	v_mul_f32_e32 v2, v11, v27
	v_cvt_f64_f32_e32 v[18:19], v44
	v_cvt_f64_f32_e32 v[20:21], v20
	v_fmac_f32_e32 v2, v10, v26
	global_load_dwordx2 v[8:9], v[34:35], off offset:3824
	v_mul_f64 v[18:19], v[18:19], s[0:1]
	v_mul_f64 v[20:21], v[20:21], s[0:1]
	v_mad_u64_u32 v[6:7], s[4:5], s8, v42, v[24:25]
	v_cvt_f64_f32_e32 v[2:3], v2
	v_cvt_f32_f64_e32 v12, v[18:19]
	v_cvt_f32_f64_e32 v13, v[20:21]
	v_add_u32_e32 v7, s2, v7
	v_mul_f64 v[2:3], v[2:3], s[0:1]
	global_store_dwordx2 v[6:7], v[12:13], off
	v_cvt_f32_f64_e32 v12, v[2:3]
	v_mul_f32_e32 v2, v10, v27
	v_add_co_u32_e32 v10, vcc, s3, v30
	v_fma_f32 v2, v26, v11, -v2
	s_nop 0
	v_addc_co_u32_e32 v11, vcc, 0, v31, vcc
	global_load_dwordx2 v[16:17], v[10:11], off offset:1488
	global_load_dwordx2 v[14:15], v[10:11], off offset:608
	v_cvt_f64_f32_e32 v[2:3], v2
	v_mul_f64 v[2:3], v[2:3], s[0:1]
	v_cvt_f32_f64_e32 v13, v[2:3]
	ds_read2_b64 v[2:5], v1 offset0:38 offset1:148
	v_mad_u64_u32 v[6:7], s[4:5], s8, v42, v[6:7]
	v_add_u32_e32 v7, s2, v7
	global_store_dwordx2 v[6:7], v[12:13], off
	s_waitcnt vmcnt(11) lgkmcnt(0)
	v_mul_f32_e32 v1, v3, v33
	v_fmac_f32_e32 v1, v2, v32
	v_cvt_f64_f32_e32 v[12:13], v1
	v_mul_f32_e32 v1, v2, v33
	v_fma_f32 v1, v32, v3, -v1
	v_cvt_f64_f32_e32 v[2:3], v1
	s_waitcnt vmcnt(10)
	v_mul_f32_e32 v1, v5, v37
	v_mul_f64 v[12:13], v[12:13], s[0:1]
	v_mul_f64 v[2:3], v[2:3], s[0:1]
	v_fmac_f32_e32 v1, v4, v36
	v_cvt_f32_f64_e32 v12, v[12:13]
	v_cvt_f32_f64_e32 v13, v[2:3]
	v_mad_u64_u32 v[6:7], s[4:5], s8, v42, v[6:7]
	v_cvt_f64_f32_e32 v[2:3], v1
	v_mul_f32_e32 v1, v4, v37
	v_add_u32_e32 v7, s2, v7
	v_mul_f64 v[2:3], v[2:3], s[0:1]
	v_fma_f32 v1, v36, v5, -v1
	global_store_dwordx2 v[6:7], v[12:13], off
	v_cvt_f32_f64_e32 v12, v[2:3]
	v_cvt_f64_f32_e32 v[2:3], v1
	v_mul_f64 v[2:3], v[2:3], s[0:1]
	v_cvt_f32_f64_e32 v13, v[2:3]
	ds_read2_b64 v[0:3], v0 offset0:2 offset1:112
	v_mad_u64_u32 v[4:5], s[4:5], s8, v42, v[6:7]
	v_add_u32_e32 v5, s2, v5
	global_store_dwordx2 v[4:5], v[12:13], off
	s_waitcnt vmcnt(11) lgkmcnt(0)
	v_mul_f32_e32 v6, v1, v39
	v_fmac_f32_e32 v6, v0, v38
	v_mul_f32_e32 v0, v0, v39
	v_fma_f32 v0, v38, v1, -v0
	v_cvt_f64_f32_e32 v[6:7], v6
	v_cvt_f64_f32_e32 v[0:1], v0
	v_mul_f64 v[6:7], v[6:7], s[0:1]
	v_mul_f64 v[0:1], v[0:1], s[0:1]
	v_cvt_f32_f64_e32 v6, v[6:7]
	v_cvt_f32_f64_e32 v7, v[0:1]
	s_waitcnt vmcnt(10)
	v_mul_f32_e32 v0, v3, v41
	v_fmac_f32_e32 v0, v2, v40
	v_mad_u64_u32 v[4:5], s[4:5], s8, v42, v[4:5]
	v_cvt_f64_f32_e32 v[0:1], v0
	v_add_u32_e32 v5, s2, v5
	v_mul_f64 v[0:1], v[0:1], s[0:1]
	global_store_dwordx2 v[4:5], v[6:7], off
	v_cvt_f32_f64_e32 v6, v[0:1]
	v_mul_f32_e32 v0, v2, v41
	v_fma_f32 v0, v40, v3, -v0
	v_cvt_f64_f32_e32 v[0:1], v0
	v_mul_f64 v[0:1], v[0:1], s[0:1]
	v_cvt_f32_f64_e32 v7, v[0:1]
	v_add_u32_e32 v0, 0x1c00, v64
	ds_read2_b64 v[0:3], v0 offset0:94 offset1:204
	v_mad_u64_u32 v[4:5], s[4:5], s8, v42, v[4:5]
	v_add_u32_e32 v5, s2, v5
	global_store_dwordx2 v[4:5], v[6:7], off
	s_waitcnt vmcnt(8) lgkmcnt(0)
	v_mul_f32_e32 v6, v1, v9
	v_fmac_f32_e32 v6, v0, v8
	v_mul_f32_e32 v0, v0, v9
	v_fma_f32 v0, v8, v1, -v0
	v_cvt_f64_f32_e32 v[6:7], v6
	v_cvt_f64_f32_e32 v[0:1], v0
	v_mul_f64 v[6:7], v[6:7], s[0:1]
	v_mul_f64 v[0:1], v[0:1], s[0:1]
	v_cvt_f32_f64_e32 v6, v[6:7]
	v_cvt_f32_f64_e32 v7, v[0:1]
	v_mad_u64_u32 v[4:5], s[4:5], s8, v42, v[4:5]
	s_waitcnt vmcnt(5)
	v_mul_f32_e32 v0, v3, v15
	v_fmac_f32_e32 v0, v2, v14
	v_cvt_f64_f32_e32 v[0:1], v0
	v_add_u32_e32 v5, s2, v5
	v_mul_f64 v[0:1], v[0:1], s[0:1]
	global_store_dwordx2 v[4:5], v[6:7], off
	v_cvt_f32_f64_e32 v6, v[0:1]
	v_mul_f32_e32 v0, v2, v15
	v_fma_f32 v0, v14, v3, -v0
	v_cvt_f64_f32_e32 v[0:1], v0
	v_mul_f64 v[0:1], v[0:1], s[0:1]
	v_cvt_f32_f64_e32 v7, v[0:1]
	v_add_u32_e32 v0, 0x2400, v64
	ds_read2_b64 v[0:3], v0 offset0:58 offset1:168
	v_mad_u64_u32 v[4:5], s[4:5], s8, v42, v[4:5]
	v_add_u32_e32 v5, s2, v5
	global_store_dwordx2 v[4:5], v[6:7], off
	s_waitcnt lgkmcnt(0)
	v_mul_f32_e32 v6, v1, v17
	v_fmac_f32_e32 v6, v0, v16
	v_mul_f32_e32 v0, v0, v17
	v_fma_f32 v0, v16, v1, -v0
	v_cvt_f64_f32_e32 v[6:7], v6
	v_cvt_f64_f32_e32 v[0:1], v0
	v_mul_f64 v[6:7], v[6:7], s[0:1]
	v_mul_f64 v[0:1], v[0:1], s[0:1]
	v_cvt_f32_f64_e32 v6, v[6:7]
	v_cvt_f32_f64_e32 v7, v[0:1]
	v_mad_u64_u32 v[0:1], s[4:5], s8, v42, v[4:5]
	v_add_u32_e32 v1, s2, v1
	global_store_dwordx2 v[0:1], v[6:7], off
	global_load_dwordx2 v[4:5], v[10:11], off offset:2368
	s_waitcnt vmcnt(0)
	v_mul_f32_e32 v6, v3, v5
	v_fmac_f32_e32 v6, v2, v4
	v_mul_f32_e32 v2, v2, v5
	v_fma_f32 v2, v4, v3, -v2
	v_cvt_f64_f32_e32 v[6:7], v6
	v_cvt_f64_f32_e32 v[2:3], v2
	v_mul_f64 v[6:7], v[6:7], s[0:1]
	v_mul_f64 v[2:3], v[2:3], s[0:1]
	v_mad_u64_u32 v[0:1], s[0:1], s8, v42, v[0:1]
	v_cvt_f32_f64_e32 v6, v[6:7]
	v_cvt_f32_f64_e32 v7, v[2:3]
	v_add_u32_e32 v1, s2, v1
	global_store_dwordx2 v[0:1], v[6:7], off
.LBB0_23:
	s_endpgm
	.section	.rodata,"a",@progbits
	.p2align	6, 0x0
	.amdhsa_kernel bluestein_single_fwd_len1430_dim1_sp_op_CI_CI
		.amdhsa_group_segment_fixed_size 11440
		.amdhsa_private_segment_fixed_size 0
		.amdhsa_kernarg_size 104
		.amdhsa_user_sgpr_count 2
		.amdhsa_user_sgpr_dispatch_ptr 0
		.amdhsa_user_sgpr_queue_ptr 0
		.amdhsa_user_sgpr_kernarg_segment_ptr 1
		.amdhsa_user_sgpr_dispatch_id 0
		.amdhsa_user_sgpr_kernarg_preload_length 0
		.amdhsa_user_sgpr_kernarg_preload_offset 0
		.amdhsa_user_sgpr_private_segment_size 0
		.amdhsa_uses_dynamic_stack 0
		.amdhsa_enable_private_segment 0
		.amdhsa_system_sgpr_workgroup_id_x 1
		.amdhsa_system_sgpr_workgroup_id_y 0
		.amdhsa_system_sgpr_workgroup_id_z 0
		.amdhsa_system_sgpr_workgroup_info 0
		.amdhsa_system_vgpr_workitem_id 0
		.amdhsa_next_free_vgpr 172
		.amdhsa_next_free_sgpr 52
		.amdhsa_accum_offset 172
		.amdhsa_reserve_vcc 1
		.amdhsa_float_round_mode_32 0
		.amdhsa_float_round_mode_16_64 0
		.amdhsa_float_denorm_mode_32 3
		.amdhsa_float_denorm_mode_16_64 3
		.amdhsa_dx10_clamp 1
		.amdhsa_ieee_mode 1
		.amdhsa_fp16_overflow 0
		.amdhsa_tg_split 0
		.amdhsa_exception_fp_ieee_invalid_op 0
		.amdhsa_exception_fp_denorm_src 0
		.amdhsa_exception_fp_ieee_div_zero 0
		.amdhsa_exception_fp_ieee_overflow 0
		.amdhsa_exception_fp_ieee_underflow 0
		.amdhsa_exception_fp_ieee_inexact 0
		.amdhsa_exception_int_div_zero 0
	.end_amdhsa_kernel
	.text
.Lfunc_end0:
	.size	bluestein_single_fwd_len1430_dim1_sp_op_CI_CI, .Lfunc_end0-bluestein_single_fwd_len1430_dim1_sp_op_CI_CI
                                        ; -- End function
	.section	.AMDGPU.csdata,"",@progbits
; Kernel info:
; codeLenInByte = 15288
; NumSgprs: 58
; NumVgprs: 172
; NumAgprs: 0
; TotalNumVgprs: 172
; ScratchSize: 0
; MemoryBound: 0
; FloatMode: 240
; IeeeMode: 1
; LDSByteSize: 11440 bytes/workgroup (compile time only)
; SGPRBlocks: 7
; VGPRBlocks: 21
; NumSGPRsForWavesPerEU: 58
; NumVGPRsForWavesPerEU: 172
; AccumOffset: 172
; Occupancy: 2
; WaveLimiterHint : 1
; COMPUTE_PGM_RSRC2:SCRATCH_EN: 0
; COMPUTE_PGM_RSRC2:USER_SGPR: 2
; COMPUTE_PGM_RSRC2:TRAP_HANDLER: 0
; COMPUTE_PGM_RSRC2:TGID_X_EN: 1
; COMPUTE_PGM_RSRC2:TGID_Y_EN: 0
; COMPUTE_PGM_RSRC2:TGID_Z_EN: 0
; COMPUTE_PGM_RSRC2:TIDIG_COMP_CNT: 0
; COMPUTE_PGM_RSRC3_GFX90A:ACCUM_OFFSET: 42
; COMPUTE_PGM_RSRC3_GFX90A:TG_SPLIT: 0
	.text
	.p2alignl 6, 3212836864
	.fill 256, 4, 3212836864
	.type	__hip_cuid_c376711711ac8ccd,@object ; @__hip_cuid_c376711711ac8ccd
	.section	.bss,"aw",@nobits
	.globl	__hip_cuid_c376711711ac8ccd
__hip_cuid_c376711711ac8ccd:
	.byte	0                               ; 0x0
	.size	__hip_cuid_c376711711ac8ccd, 1

	.ident	"AMD clang version 19.0.0git (https://github.com/RadeonOpenCompute/llvm-project roc-6.4.0 25133 c7fe45cf4b819c5991fe208aaa96edf142730f1d)"
	.section	".note.GNU-stack","",@progbits
	.addrsig
	.addrsig_sym __hip_cuid_c376711711ac8ccd
	.amdgpu_metadata
---
amdhsa.kernels:
  - .agpr_count:     0
    .args:
      - .actual_access:  read_only
        .address_space:  global
        .offset:         0
        .size:           8
        .value_kind:     global_buffer
      - .actual_access:  read_only
        .address_space:  global
        .offset:         8
        .size:           8
        .value_kind:     global_buffer
      - .actual_access:  read_only
        .address_space:  global
        .offset:         16
        .size:           8
        .value_kind:     global_buffer
      - .actual_access:  read_only
        .address_space:  global
        .offset:         24
        .size:           8
        .value_kind:     global_buffer
      - .actual_access:  read_only
        .address_space:  global
        .offset:         32
        .size:           8
        .value_kind:     global_buffer
      - .offset:         40
        .size:           8
        .value_kind:     by_value
      - .address_space:  global
        .offset:         48
        .size:           8
        .value_kind:     global_buffer
      - .address_space:  global
        .offset:         56
        .size:           8
        .value_kind:     global_buffer
      - .address_space:  global
        .offset:         64
        .size:           8
        .value_kind:     global_buffer
      - .address_space:  global
        .offset:         72
        .size:           8
        .value_kind:     global_buffer
      - .offset:         80
        .size:           4
        .value_kind:     by_value
      - .address_space:  global
        .offset:         88
        .size:           8
        .value_kind:     global_buffer
      - .address_space:  global
        .offset:         96
        .size:           8
        .value_kind:     global_buffer
    .group_segment_fixed_size: 11440
    .kernarg_segment_align: 8
    .kernarg_segment_size: 104
    .language:       OpenCL C
    .language_version:
      - 2
      - 0
    .max_flat_workgroup_size: 143
    .name:           bluestein_single_fwd_len1430_dim1_sp_op_CI_CI
    .private_segment_fixed_size: 0
    .sgpr_count:     58
    .sgpr_spill_count: 0
    .symbol:         bluestein_single_fwd_len1430_dim1_sp_op_CI_CI.kd
    .uniform_work_group_size: 1
    .uses_dynamic_stack: false
    .vgpr_count:     172
    .vgpr_spill_count: 0
    .wavefront_size: 64
amdhsa.target:   amdgcn-amd-amdhsa--gfx950
amdhsa.version:
  - 1
  - 2
...

	.end_amdgpu_metadata
